;; amdgpu-corpus repo=ROCm/rocFFT kind=compiled arch=gfx906 opt=O3
	.text
	.amdgcn_target "amdgcn-amd-amdhsa--gfx906"
	.amdhsa_code_object_version 6
	.protected	fft_rtc_fwd_len4000_factors_10_10_10_4_wgs_200_tpt_200_halfLds_sp_ip_CI_unitstride_sbrr_R2C_dirReg ; -- Begin function fft_rtc_fwd_len4000_factors_10_10_10_4_wgs_200_tpt_200_halfLds_sp_ip_CI_unitstride_sbrr_R2C_dirReg
	.globl	fft_rtc_fwd_len4000_factors_10_10_10_4_wgs_200_tpt_200_halfLds_sp_ip_CI_unitstride_sbrr_R2C_dirReg
	.p2align	8
	.type	fft_rtc_fwd_len4000_factors_10_10_10_4_wgs_200_tpt_200_halfLds_sp_ip_CI_unitstride_sbrr_R2C_dirReg,@function
fft_rtc_fwd_len4000_factors_10_10_10_4_wgs_200_tpt_200_halfLds_sp_ip_CI_unitstride_sbrr_R2C_dirReg: ; @fft_rtc_fwd_len4000_factors_10_10_10_4_wgs_200_tpt_200_halfLds_sp_ip_CI_unitstride_sbrr_R2C_dirReg
; %bb.0:
	s_load_dwordx2 s[2:3], s[4:5], 0x50
	s_load_dwordx4 s[8:11], s[4:5], 0x0
	s_load_dwordx2 s[12:13], s[4:5], 0x18
	v_mul_u32_u24_e32 v1, 0x148, v0
	v_add_u32_sdwa v5, s6, v1 dst_sel:DWORD dst_unused:UNUSED_PAD src0_sel:DWORD src1_sel:WORD_1
	v_mov_b32_e32 v3, 0
	s_waitcnt lgkmcnt(0)
	v_cmp_lt_u64_e64 s[0:1], s[10:11], 2
	v_mov_b32_e32 v1, 0
	v_mov_b32_e32 v6, v3
	s_and_b64 vcc, exec, s[0:1]
	v_mov_b32_e32 v2, 0
	s_cbranch_vccnz .LBB0_8
; %bb.1:
	s_load_dwordx2 s[0:1], s[4:5], 0x10
	s_add_u32 s6, s12, 8
	s_addc_u32 s7, s13, 0
	v_mov_b32_e32 v1, 0
	v_mov_b32_e32 v2, 0
	s_waitcnt lgkmcnt(0)
	s_add_u32 s14, s0, 8
	s_addc_u32 s15, s1, 0
	s_mov_b64 s[16:17], 1
.LBB0_2:                                ; =>This Inner Loop Header: Depth=1
	s_load_dwordx2 s[18:19], s[14:15], 0x0
                                        ; implicit-def: $vgpr7_vgpr8
	s_waitcnt lgkmcnt(0)
	v_or_b32_e32 v4, s19, v6
	v_cmp_ne_u64_e32 vcc, 0, v[3:4]
	s_and_saveexec_b64 s[0:1], vcc
	s_xor_b64 s[20:21], exec, s[0:1]
	s_cbranch_execz .LBB0_4
; %bb.3:                                ;   in Loop: Header=BB0_2 Depth=1
	v_cvt_f32_u32_e32 v4, s18
	v_cvt_f32_u32_e32 v7, s19
	s_sub_u32 s0, 0, s18
	s_subb_u32 s1, 0, s19
	v_mac_f32_e32 v4, 0x4f800000, v7
	v_rcp_f32_e32 v4, v4
	v_mul_f32_e32 v4, 0x5f7ffffc, v4
	v_mul_f32_e32 v7, 0x2f800000, v4
	v_trunc_f32_e32 v7, v7
	v_mac_f32_e32 v4, 0xcf800000, v7
	v_cvt_u32_f32_e32 v7, v7
	v_cvt_u32_f32_e32 v4, v4
	v_mul_lo_u32 v8, s0, v7
	v_mul_hi_u32 v9, s0, v4
	v_mul_lo_u32 v11, s1, v4
	v_mul_lo_u32 v10, s0, v4
	v_add_u32_e32 v8, v9, v8
	v_add_u32_e32 v8, v8, v11
	v_mul_hi_u32 v9, v4, v10
	v_mul_lo_u32 v11, v4, v8
	v_mul_hi_u32 v13, v4, v8
	v_mul_hi_u32 v12, v7, v10
	v_mul_lo_u32 v10, v7, v10
	v_mul_hi_u32 v14, v7, v8
	v_add_co_u32_e32 v9, vcc, v9, v11
	v_addc_co_u32_e32 v11, vcc, 0, v13, vcc
	v_mul_lo_u32 v8, v7, v8
	v_add_co_u32_e32 v9, vcc, v9, v10
	v_addc_co_u32_e32 v9, vcc, v11, v12, vcc
	v_addc_co_u32_e32 v10, vcc, 0, v14, vcc
	v_add_co_u32_e32 v8, vcc, v9, v8
	v_addc_co_u32_e32 v9, vcc, 0, v10, vcc
	v_add_co_u32_e32 v4, vcc, v4, v8
	v_addc_co_u32_e32 v7, vcc, v7, v9, vcc
	v_mul_lo_u32 v8, s0, v7
	v_mul_hi_u32 v9, s0, v4
	v_mul_lo_u32 v10, s1, v4
	v_mul_lo_u32 v11, s0, v4
	v_add_u32_e32 v8, v9, v8
	v_add_u32_e32 v8, v8, v10
	v_mul_lo_u32 v12, v4, v8
	v_mul_hi_u32 v13, v4, v11
	v_mul_hi_u32 v14, v4, v8
	;; [unrolled: 1-line block ×3, first 2 shown]
	v_mul_lo_u32 v11, v7, v11
	v_mul_hi_u32 v9, v7, v8
	v_add_co_u32_e32 v12, vcc, v13, v12
	v_addc_co_u32_e32 v13, vcc, 0, v14, vcc
	v_mul_lo_u32 v8, v7, v8
	v_add_co_u32_e32 v11, vcc, v12, v11
	v_addc_co_u32_e32 v10, vcc, v13, v10, vcc
	v_addc_co_u32_e32 v9, vcc, 0, v9, vcc
	v_add_co_u32_e32 v8, vcc, v10, v8
	v_addc_co_u32_e32 v9, vcc, 0, v9, vcc
	v_add_co_u32_e32 v4, vcc, v4, v8
	v_addc_co_u32_e32 v9, vcc, v7, v9, vcc
	v_mad_u64_u32 v[7:8], s[0:1], v5, v9, 0
	v_mul_hi_u32 v10, v5, v4
	v_add_co_u32_e32 v11, vcc, v10, v7
	v_addc_co_u32_e32 v12, vcc, 0, v8, vcc
	v_mad_u64_u32 v[7:8], s[0:1], v6, v4, 0
	v_mad_u64_u32 v[9:10], s[0:1], v6, v9, 0
	v_add_co_u32_e32 v4, vcc, v11, v7
	v_addc_co_u32_e32 v4, vcc, v12, v8, vcc
	v_addc_co_u32_e32 v7, vcc, 0, v10, vcc
	v_add_co_u32_e32 v4, vcc, v4, v9
	v_addc_co_u32_e32 v9, vcc, 0, v7, vcc
	v_mul_lo_u32 v10, s19, v4
	v_mul_lo_u32 v11, s18, v9
	v_mad_u64_u32 v[7:8], s[0:1], s18, v4, 0
	v_add3_u32 v8, v8, v11, v10
	v_sub_u32_e32 v10, v6, v8
	v_mov_b32_e32 v11, s19
	v_sub_co_u32_e32 v7, vcc, v5, v7
	v_subb_co_u32_e64 v10, s[0:1], v10, v11, vcc
	v_subrev_co_u32_e64 v11, s[0:1], s18, v7
	v_subbrev_co_u32_e64 v10, s[0:1], 0, v10, s[0:1]
	v_cmp_le_u32_e64 s[0:1], s19, v10
	v_cndmask_b32_e64 v12, 0, -1, s[0:1]
	v_cmp_le_u32_e64 s[0:1], s18, v11
	v_cndmask_b32_e64 v11, 0, -1, s[0:1]
	v_cmp_eq_u32_e64 s[0:1], s19, v10
	v_cndmask_b32_e64 v10, v12, v11, s[0:1]
	v_add_co_u32_e64 v11, s[0:1], 2, v4
	v_addc_co_u32_e64 v12, s[0:1], 0, v9, s[0:1]
	v_add_co_u32_e64 v13, s[0:1], 1, v4
	v_addc_co_u32_e64 v14, s[0:1], 0, v9, s[0:1]
	v_subb_co_u32_e32 v8, vcc, v6, v8, vcc
	v_cmp_ne_u32_e64 s[0:1], 0, v10
	v_cmp_le_u32_e32 vcc, s19, v8
	v_cndmask_b32_e64 v10, v14, v12, s[0:1]
	v_cndmask_b32_e64 v12, 0, -1, vcc
	v_cmp_le_u32_e32 vcc, s18, v7
	v_cndmask_b32_e64 v7, 0, -1, vcc
	v_cmp_eq_u32_e32 vcc, s19, v8
	v_cndmask_b32_e32 v7, v12, v7, vcc
	v_cmp_ne_u32_e32 vcc, 0, v7
	v_cndmask_b32_e64 v7, v13, v11, s[0:1]
	v_cndmask_b32_e32 v8, v9, v10, vcc
	v_cndmask_b32_e32 v7, v4, v7, vcc
.LBB0_4:                                ;   in Loop: Header=BB0_2 Depth=1
	s_andn2_saveexec_b64 s[0:1], s[20:21]
	s_cbranch_execz .LBB0_6
; %bb.5:                                ;   in Loop: Header=BB0_2 Depth=1
	v_cvt_f32_u32_e32 v4, s18
	s_sub_i32 s20, 0, s18
	v_rcp_iflag_f32_e32 v4, v4
	v_mul_f32_e32 v4, 0x4f7ffffe, v4
	v_cvt_u32_f32_e32 v4, v4
	v_mul_lo_u32 v7, s20, v4
	v_mul_hi_u32 v7, v4, v7
	v_add_u32_e32 v4, v4, v7
	v_mul_hi_u32 v4, v5, v4
	v_mul_lo_u32 v7, v4, s18
	v_add_u32_e32 v8, 1, v4
	v_sub_u32_e32 v7, v5, v7
	v_subrev_u32_e32 v9, s18, v7
	v_cmp_le_u32_e32 vcc, s18, v7
	v_cndmask_b32_e32 v7, v7, v9, vcc
	v_cndmask_b32_e32 v4, v4, v8, vcc
	v_add_u32_e32 v8, 1, v4
	v_cmp_le_u32_e32 vcc, s18, v7
	v_cndmask_b32_e32 v7, v4, v8, vcc
	v_mov_b32_e32 v8, v3
.LBB0_6:                                ;   in Loop: Header=BB0_2 Depth=1
	s_or_b64 exec, exec, s[0:1]
	v_mul_lo_u32 v4, v8, s18
	v_mul_lo_u32 v11, v7, s19
	v_mad_u64_u32 v[9:10], s[0:1], v7, s18, 0
	s_load_dwordx2 s[0:1], s[6:7], 0x0
	s_add_u32 s16, s16, 1
	v_add3_u32 v4, v10, v11, v4
	v_sub_co_u32_e32 v5, vcc, v5, v9
	v_subb_co_u32_e32 v4, vcc, v6, v4, vcc
	s_waitcnt lgkmcnt(0)
	v_mul_lo_u32 v4, s0, v4
	v_mul_lo_u32 v6, s1, v5
	v_mad_u64_u32 v[1:2], s[0:1], s0, v5, v[1:2]
	s_addc_u32 s17, s17, 0
	s_add_u32 s6, s6, 8
	v_add3_u32 v2, v6, v2, v4
	v_mov_b32_e32 v4, s10
	v_mov_b32_e32 v5, s11
	s_addc_u32 s7, s7, 0
	v_cmp_ge_u64_e32 vcc, s[16:17], v[4:5]
	s_add_u32 s14, s14, 8
	s_addc_u32 s15, s15, 0
	s_cbranch_vccnz .LBB0_9
; %bb.7:                                ;   in Loop: Header=BB0_2 Depth=1
	v_mov_b32_e32 v5, v7
	v_mov_b32_e32 v6, v8
	s_branch .LBB0_2
.LBB0_8:
	v_mov_b32_e32 v8, v6
	v_mov_b32_e32 v7, v5
.LBB0_9:
	s_lshl_b64 s[0:1], s[10:11], 3
	s_add_u32 s0, s12, s0
	s_addc_u32 s1, s13, s1
	s_load_dwordx2 s[6:7], s[0:1], 0x0
	s_load_dwordx2 s[10:11], s[4:5], 0x20
                                        ; implicit-def: $vgpr44
                                        ; implicit-def: $vgpr48
                                        ; implicit-def: $vgpr46
                                        ; implicit-def: $vgpr47
	s_waitcnt lgkmcnt(0)
	v_mad_u64_u32 v[1:2], s[0:1], s6, v7, v[1:2]
	s_mov_b32 s0, 0x147ae15
	v_mul_lo_u32 v3, s6, v8
	v_mul_lo_u32 v4, s7, v7
	v_mul_hi_u32 v5, v0, s0
	v_cmp_gt_u64_e64 s[0:1], s[10:11], v[7:8]
	v_cmp_le_u64_e32 vcc, s[10:11], v[7:8]
	v_add3_u32 v2, v4, v2, v3
	v_mul_u32_u24_e32 v3, 0xc8, v5
	v_sub_u32_e32 v40, v0, v3
	s_and_saveexec_b64 s[4:5], vcc
	s_xor_b64 s[4:5], exec, s[4:5]
; %bb.10:
	v_add_u32_e32 v44, 0xc8, v40
	v_add_u32_e32 v48, 0x190, v40
	;; [unrolled: 1-line block ×4, first 2 shown]
; %bb.11:
	s_or_saveexec_b64 s[4:5], s[4:5]
	v_lshlrev_b64 v[42:43], 3, v[1:2]
	s_xor_b64 exec, exec, s[4:5]
	s_cbranch_execz .LBB0_13
; %bb.12:
	v_mov_b32_e32 v41, 0
	v_mov_b32_e32 v0, s3
	v_add_co_u32_e32 v2, vcc, s2, v42
	v_addc_co_u32_e32 v3, vcc, v0, v43, vcc
	v_lshlrev_b64 v[0:1], 3, v[40:41]
	s_movk_i32 s6, 0x1000
	v_add_co_u32_e32 v0, vcc, v2, v0
	v_addc_co_u32_e32 v1, vcc, v3, v1, vcc
	v_add_co_u32_e32 v2, vcc, s6, v0
	v_addc_co_u32_e32 v3, vcc, 0, v1, vcc
	s_movk_i32 s6, 0x2000
	v_add_co_u32_e32 v6, vcc, s6, v0
	v_addc_co_u32_e32 v7, vcc, 0, v1, vcc
	s_movk_i32 s6, 0x3000
	global_load_dwordx2 v[4:5], v[2:3], off offset:704
	global_load_dwordx2 v[8:9], v[2:3], off offset:2304
	;; [unrolled: 1-line block ×5, first 2 shown]
	v_add_co_u32_e32 v2, vcc, s6, v0
	v_addc_co_u32_e32 v3, vcc, 0, v1, vcc
	s_movk_i32 s6, 0x4000
	v_add_co_u32_e32 v6, vcc, s6, v0
	v_addc_co_u32_e32 v7, vcc, 0, v1, vcc
	s_movk_i32 s6, 0x5000
	global_load_dwordx2 v[16:17], v[2:3], off offset:512
	global_load_dwordx2 v[18:19], v[2:3], off offset:2112
	;; [unrolled: 1-line block ×4, first 2 shown]
	global_load_dwordx2 v[24:25], v[0:1], off
	global_load_dwordx2 v[26:27], v[0:1], off offset:3200
	global_load_dwordx2 v[28:29], v[0:1], off offset:1600
	v_add_co_u32_e32 v2, vcc, s6, v0
	v_addc_co_u32_e32 v3, vcc, 0, v1, vcc
	v_add_co_u32_e32 v30, vcc, 0x6000, v0
	v_addc_co_u32_e32 v31, vcc, 0, v1, vcc
	v_add_co_u32_e32 v0, vcc, 0x7000, v0
	global_load_dwordx2 v[32:33], v[6:7], off offset:2816
	global_load_dwordx2 v[34:35], v[2:3], off offset:320
	;; [unrolled: 1-line block ×4, first 2 shown]
	s_nop 0
	global_load_dwordx2 v[2:3], v[30:31], off offset:1024
	global_load_dwordx2 v[6:7], v[30:31], off offset:2624
	v_addc_co_u32_e32 v1, vcc, 0, v1, vcc
	global_load_dwordx2 v[30:31], v[0:1], off offset:128
	global_load_dwordx2 v[49:50], v[0:1], off offset:1728
	v_lshl_add_u32 v0, v40, 3, 0
	v_add_u32_e32 v1, 0xc00, v0
	v_add_u32_e32 v46, 0x3200, v0
	;; [unrolled: 1-line block ×11, first 2 shown]
	s_waitcnt vmcnt(9)
	ds_write2_b64 v1, v[26:27], v[4:5] offset0:16 offset1:216
	ds_write2_b64 v41, v[8:9], v[10:11] offset0:32 offset1:232
	;; [unrolled: 1-line block ×3, first 2 shown]
	ds_write2_b64 v46, v[16:17], v[18:19] offset1:200
	ds_write2_b64 v51, v[20:21], v[22:23] offset0:16 offset1:216
	s_waitcnt vmcnt(8)
	ds_write2_b64 v0, v[24:25], v[28:29] offset1:200
	s_waitcnt vmcnt(6)
	ds_write2_b64 v52, v[32:33], v[34:35] offset0:32 offset1:232
	s_waitcnt vmcnt(4)
	ds_write2_b64 v53, v[36:37], v[38:39] offset0:48 offset1:248
	s_waitcnt vmcnt(2)
	ds_write2_b64 v54, v[2:3], v[6:7] offset1:200
	v_add_u32_e32 v46, 0x320, v40
	v_add_u32_e32 v0, 0x7000, v0
	s_waitcnt vmcnt(0)
	ds_write2_b64 v0, v[30:31], v[49:50] offset0:16 offset1:216
.LBB0_13:
	s_or_b64 exec, exec, s[4:5]
	v_lshlrev_b32_e32 v41, 3, v40
	v_add_u32_e32 v51, 0, v41
	v_add_u32_e32 v8, 0x1800, v51
	;; [unrolled: 1-line block ×3, first 2 shown]
	s_waitcnt lgkmcnt(0)
	s_barrier
	ds_read2_b64 v[0:3], v51 offset1:200
	ds_read2_b64 v[24:27], v8 offset0:32 offset1:232
	ds_read2_b64 v[36:39], v12 offset1:200
	v_add_u32_e32 v12, 0x3e00, v51
	ds_read2_b64 v[16:19], v12 offset0:16 offset1:216
	v_add_u32_e32 v12, 0x4a00, v51
	ds_read2_b64 v[28:31], v12 offset0:32 offset1:232
	v_add_u32_e32 v20, 0x6400, v51
	ds_read2_b64 v[32:35], v20 offset1:200
	s_waitcnt lgkmcnt(4)
	v_add_f32_e32 v45, v0, v24
	s_waitcnt lgkmcnt(3)
	v_add_f32_e32 v45, v45, v36
	;; [unrolled: 2-line block ×3, first 2 shown]
	v_sub_f32_e32 v54, v37, v29
	s_waitcnt lgkmcnt(0)
	v_add_f32_e32 v49, v45, v32
	v_add_f32_e32 v45, v36, v28
	v_fma_f32 v45, -0.5, v45, v0
	v_sub_f32_e32 v53, v25, v33
	v_mov_b32_e32 v50, v45
	v_fmac_f32_e32 v50, 0x3f737871, v53
	v_sub_f32_e32 v52, v24, v36
	v_sub_f32_e32 v55, v32, v28
	v_fmac_f32_e32 v45, 0xbf737871, v53
	v_fmac_f32_e32 v50, 0x3f167918, v54
	v_add_f32_e32 v52, v52, v55
	v_fmac_f32_e32 v45, 0xbf167918, v54
	v_fmac_f32_e32 v50, 0x3e9e377a, v52
	;; [unrolled: 1-line block ×3, first 2 shown]
	v_add_f32_e32 v52, v24, v32
	v_fma_f32 v0, -0.5, v52, v0
	v_mov_b32_e32 v52, v0
	v_fmac_f32_e32 v52, 0xbf737871, v54
	v_fmac_f32_e32 v0, 0x3f737871, v54
	;; [unrolled: 1-line block ×4, first 2 shown]
	v_add_f32_e32 v53, v1, v25
	v_add_f32_e32 v53, v53, v37
	;; [unrolled: 1-line block ×5, first 2 shown]
	v_add_u32_e32 v12, 0x5600, v51
	v_sub_f32_e32 v55, v36, v24
	v_sub_f32_e32 v56, v28, v32
	v_fma_f32 v53, -0.5, v53, v1
	v_add_u32_e32 v4, 0xc00, v51
	ds_read2_b64 v[12:15], v12 offset0:48 offset1:248
	v_add_f32_e32 v55, v55, v56
	v_sub_f32_e32 v32, v24, v32
	v_mov_b32_e32 v24, v53
	ds_read2_b64 v[4:7], v4 offset0:16 offset1:216
	v_add_u32_e32 v8, 0x2400, v51
	v_add_u32_e32 v20, 0x7000, v51
	v_fmac_f32_e32 v52, 0x3e9e377a, v55
	v_fmac_f32_e32 v0, 0x3e9e377a, v55
	;; [unrolled: 1-line block ×3, first 2 shown]
	v_sub_f32_e32 v36, v36, v28
	v_sub_f32_e32 v28, v25, v37
	;; [unrolled: 1-line block ×3, first 2 shown]
	v_fmac_f32_e32 v53, 0x3f737871, v32
	ds_read2_b64 v[8:11], v8 offset0:48 offset1:248
	ds_read2_b64 v[20:23], v20 offset0:16 offset1:216
	v_fmac_f32_e32 v24, 0xbf167918, v36
	v_add_f32_e32 v28, v28, v55
	v_fmac_f32_e32 v53, 0x3f167918, v36
	v_fmac_f32_e32 v24, 0x3e9e377a, v28
	;; [unrolled: 1-line block ×3, first 2 shown]
	v_add_f32_e32 v28, v25, v33
	v_fma_f32 v1, -0.5, v28, v1
	v_sub_f32_e32 v25, v37, v25
	v_sub_f32_e32 v29, v29, v33
	v_mov_b32_e32 v28, v1
	v_add_f32_e32 v25, v25, v29
	s_waitcnt lgkmcnt(3)
	v_add_f32_e32 v29, v16, v12
	v_fmac_f32_e32 v28, 0x3f737871, v36
	v_fmac_f32_e32 v1, 0xbf737871, v36
	s_waitcnt lgkmcnt(2)
	v_fma_f32 v29, -0.5, v29, v4
	v_fmac_f32_e32 v28, 0xbf167918, v32
	v_fmac_f32_e32 v1, 0x3f167918, v32
	s_waitcnt lgkmcnt(0)
	v_sub_f32_e32 v32, v9, v21
	v_mov_b32_e32 v33, v29
	v_fmac_f32_e32 v33, 0x3f737871, v32
	v_sub_f32_e32 v36, v17, v13
	v_sub_f32_e32 v37, v8, v16
	;; [unrolled: 1-line block ×3, first 2 shown]
	v_fmac_f32_e32 v29, 0xbf737871, v32
	v_fmac_f32_e32 v33, 0x3f167918, v36
	v_add_f32_e32 v37, v37, v55
	v_fmac_f32_e32 v29, 0xbf167918, v36
	v_fmac_f32_e32 v33, 0x3e9e377a, v37
	;; [unrolled: 1-line block ×3, first 2 shown]
	v_add_f32_e32 v37, v8, v20
	v_fmac_f32_e32 v28, 0x3e9e377a, v25
	v_fmac_f32_e32 v1, 0x3e9e377a, v25
	v_add_f32_e32 v25, v4, v8
	v_fma_f32 v4, -0.5, v37, v4
	v_mov_b32_e32 v37, v4
	v_fmac_f32_e32 v37, 0xbf737871, v36
	v_fmac_f32_e32 v4, 0x3f737871, v36
	v_add_f32_e32 v25, v25, v16
	v_fmac_f32_e32 v37, 0x3f167918, v32
	v_fmac_f32_e32 v4, 0xbf167918, v32
	v_add_f32_e32 v32, v17, v13
	v_add_f32_e32 v25, v25, v12
	v_fma_f32 v32, -0.5, v32, v5
	v_add_f32_e32 v25, v25, v20
	v_sub_f32_e32 v55, v16, v8
	v_sub_f32_e32 v56, v12, v20
	;; [unrolled: 1-line block ×3, first 2 shown]
	v_mov_b32_e32 v20, v32
	v_fmac_f32_e32 v20, 0xbf737871, v8
	v_sub_f32_e32 v12, v16, v12
	v_sub_f32_e32 v16, v9, v17
	;; [unrolled: 1-line block ×3, first 2 shown]
	v_fmac_f32_e32 v32, 0x3f737871, v8
	v_fmac_f32_e32 v20, 0xbf167918, v12
	v_add_f32_e32 v16, v16, v36
	v_fmac_f32_e32 v32, 0x3f167918, v12
	v_add_f32_e32 v55, v55, v56
	v_fmac_f32_e32 v20, 0x3e9e377a, v16
	v_fmac_f32_e32 v32, 0x3e9e377a, v16
	v_add_f32_e32 v16, v2, v26
	v_fmac_f32_e32 v37, 0x3e9e377a, v55
	v_fmac_f32_e32 v4, 0x3e9e377a, v55
	v_add_f32_e32 v55, v16, v38
	v_add_f32_e32 v16, v3, v27
	;; [unrolled: 1-line block ×4, first 2 shown]
	v_fma_f32 v16, -0.5, v16, v5
	v_sub_f32_e32 v36, v17, v9
	v_sub_f32_e32 v63, v13, v21
	v_add_f32_e32 v36, v36, v63
	v_mov_b32_e32 v63, v16
	v_fmac_f32_e32 v16, 0xbf737871, v12
	v_add_f32_e32 v5, v5, v9
	v_fmac_f32_e32 v63, 0x3f737871, v12
	v_add_f32_e32 v5, v5, v17
	v_fmac_f32_e32 v16, 0x3f167918, v8
	s_mov_b32 s5, 0x3f737871
	v_add_f32_e32 v5, v5, v13
	v_fmac_f32_e32 v63, 0xbf167918, v8
	v_fmac_f32_e32 v16, 0x3e9e377a, v36
	v_mul_f32_e32 v8, 0x3f4f1bbd, v33
	v_mul_f32_e32 v12, 0xbf167918, v33
	;; [unrolled: 1-line block ×3, first 2 shown]
	s_mov_b32 s4, 0x3f167918
	s_mov_b32 s7, 0xbf737871
	v_fmac_f32_e32 v63, 0x3e9e377a, v36
	v_fmac_f32_e32 v8, 0x3f167918, v20
	v_fmac_f32_e32 v12, 0x3f4f1bbd, v20
	v_fma_f32 v20, v16, s5, -v13
	v_mul_f32_e32 v13, 0xbf737871, v37
	v_mul_f32_e32 v17, 0x3f4f1bbd, v29
	;; [unrolled: 1-line block ×3, first 2 shown]
	s_mov_b32 s6, 0xbf167918
	v_add_f32_e32 v56, v38, v30
	v_add_f32_e32 v5, v5, v21
	v_mul_f32_e32 v9, 0x3f737871, v63
	v_fmac_f32_e32 v13, 0x3e9e377a, v63
	v_fma_f32 v63, v32, s4, -v17
	v_fma_f32 v21, v4, s7, -v16
	v_mul_f32_e32 v4, 0x3f4f1bbd, v32
	v_fmac_f32_e32 v9, 0x3e9e377a, v37
	v_fma_f32 v64, v29, s6, -v4
	v_add_f32_e32 v32, v49, v25
	v_sub_f32_e32 v16, v49, v25
	v_add_f32_e32 v36, v50, v8
	v_sub_f32_e32 v4, v50, v8
	;; [unrolled: 2-line block ×5, first 2 shown]
	v_fma_f32 v45, -0.5, v56, v2
	v_add_f32_e32 v33, v54, v5
	v_sub_f32_e32 v17, v54, v5
	v_add_f32_e32 v37, v24, v12
	v_sub_f32_e32 v5, v24, v12
	;; [unrolled: 2-line block ×5, first 2 shown]
	v_sub_f32_e32 v49, v27, v35
	v_mov_b32_e32 v52, v45
	v_add_f32_e32 v53, v26, v34
	v_sub_f32_e32 v57, v39, v31
	v_sub_f32_e32 v58, v26, v38
	;; [unrolled: 1-line block ×3, first 2 shown]
	v_fmac_f32_e32 v52, 0x3f737871, v49
	v_fmac_f32_e32 v45, 0xbf737871, v49
	v_fma_f32 v2, -0.5, v53, v2
	v_add_f32_e32 v50, v58, v50
	v_fmac_f32_e32 v52, 0x3f167918, v57
	v_fmac_f32_e32 v45, 0xbf167918, v57
	v_mov_b32_e32 v53, v2
	v_sub_f32_e32 v59, v38, v26
	v_fmac_f32_e32 v52, 0x3e9e377a, v50
	v_fmac_f32_e32 v45, 0x3e9e377a, v50
	v_sub_f32_e32 v50, v30, v34
	v_fmac_f32_e32 v53, 0xbf737871, v57
	v_fmac_f32_e32 v2, 0x3f737871, v57
	v_add_f32_e32 v61, v39, v31
	v_sub_f32_e32 v62, v27, v39
	v_sub_f32_e32 v39, v39, v27
	v_add_f32_e32 v50, v59, v50
	v_fmac_f32_e32 v53, 0x3f167918, v49
	v_fmac_f32_e32 v2, 0xbf167918, v49
	v_add_f32_e32 v27, v27, v35
	v_fmac_f32_e32 v53, 0x3e9e377a, v50
	v_fmac_f32_e32 v2, 0x3e9e377a, v50
	v_fma_f32 v50, -0.5, v61, v3
	v_fmac_f32_e32 v3, -0.5, v27
	v_sub_f32_e32 v38, v38, v30
	v_add_f32_e32 v30, v55, v30
	v_mov_b32_e32 v27, v3
	v_add_f32_e32 v30, v30, v34
	v_add_f32_e32 v49, v60, v31
	v_sub_f32_e32 v26, v26, v34
	v_sub_f32_e32 v34, v35, v31
	v_fmac_f32_e32 v27, 0x3f737871, v38
	v_sub_f32_e32 v31, v31, v35
	v_fmac_f32_e32 v3, 0xbf737871, v38
	v_mov_b32_e32 v54, v50
	v_fmac_f32_e32 v27, 0xbf167918, v26
	v_add_f32_e32 v31, v39, v31
	v_fmac_f32_e32 v3, 0x3f167918, v26
	v_fmac_f32_e32 v54, 0xbf737871, v26
	v_fmac_f32_e32 v50, 0x3f737871, v26
	v_fmac_f32_e32 v27, 0x3e9e377a, v31
	v_fmac_f32_e32 v3, 0x3e9e377a, v31
	v_add_f32_e32 v31, v18, v14
	v_add_f32_e32 v34, v62, v34
	v_fmac_f32_e32 v54, 0xbf167918, v38
	v_fmac_f32_e32 v50, 0x3f167918, v38
	v_fma_f32 v31, -0.5, v31, v6
	v_fmac_f32_e32 v54, 0x3e9e377a, v34
	v_fmac_f32_e32 v50, 0x3e9e377a, v34
	v_sub_f32_e32 v34, v11, v23
	v_mov_b32_e32 v39, v31
	v_add_f32_e32 v49, v49, v35
	v_fmac_f32_e32 v39, 0x3f737871, v34
	v_sub_f32_e32 v35, v19, v15
	v_sub_f32_e32 v38, v10, v18
	;; [unrolled: 1-line block ×3, first 2 shown]
	v_fmac_f32_e32 v31, 0xbf737871, v34
	v_fmac_f32_e32 v39, 0x3f167918, v35
	v_add_f32_e32 v38, v38, v55
	v_fmac_f32_e32 v31, 0xbf167918, v35
	v_fmac_f32_e32 v39, 0x3e9e377a, v38
	;; [unrolled: 1-line block ×3, first 2 shown]
	v_add_f32_e32 v38, v10, v22
	v_fma_f32 v55, -0.5, v38, v6
	v_mov_b32_e32 v56, v55
	v_add_f32_e32 v26, v6, v10
	v_fmac_f32_e32 v56, 0xbf737871, v35
	v_sub_f32_e32 v6, v18, v10
	v_sub_f32_e32 v38, v14, v22
	v_fmac_f32_e32 v55, 0x3f737871, v35
	v_fmac_f32_e32 v56, 0x3f167918, v34
	v_add_f32_e32 v6, v6, v38
	v_fmac_f32_e32 v55, 0xbf167918, v34
	v_fmac_f32_e32 v56, 0x3e9e377a, v6
	v_fmac_f32_e32 v55, 0x3e9e377a, v6
	v_add_f32_e32 v6, v7, v11
	v_add_f32_e32 v6, v6, v19
	;; [unrolled: 1-line block ×7, first 2 shown]
	v_fma_f32 v58, -0.5, v6, v7
	v_add_f32_e32 v26, v26, v22
	v_sub_f32_e32 v6, v10, v22
	v_mov_b32_e32 v22, v58
	v_fmac_f32_e32 v22, 0xbf737871, v6
	v_sub_f32_e32 v10, v18, v14
	v_sub_f32_e32 v14, v11, v19
	;; [unrolled: 1-line block ×3, first 2 shown]
	v_fmac_f32_e32 v58, 0x3f737871, v6
	v_fmac_f32_e32 v22, 0xbf167918, v10
	v_add_f32_e32 v14, v14, v18
	v_fmac_f32_e32 v58, 0x3f167918, v10
	v_fmac_f32_e32 v22, 0x3e9e377a, v14
	;; [unrolled: 1-line block ×3, first 2 shown]
	v_add_f32_e32 v14, v11, v23
	v_fmac_f32_e32 v7, -0.5, v14
	v_mov_b32_e32 v18, v7
	v_fmac_f32_e32 v18, 0x3f737871, v10
	v_sub_f32_e32 v11, v19, v11
	v_sub_f32_e32 v14, v15, v23
	v_fmac_f32_e32 v7, 0xbf737871, v10
	v_fmac_f32_e32 v18, 0xbf167918, v6
	v_add_f32_e32 v11, v11, v14
	v_fmac_f32_e32 v7, 0x3f167918, v6
	v_fmac_f32_e32 v18, 0x3e9e377a, v11
	;; [unrolled: 1-line block ×3, first 2 shown]
	v_mul_f32_e32 v6, 0x3e9e377a, v55
	v_mul_f32_e32 v23, 0x3f737871, v18
	v_fma_f32 v59, v7, s5, -v6
	v_mul_f32_e32 v6, 0x3f4f1bbd, v31
	v_fmac_f32_e32 v23, 0x3e9e377a, v56
	v_fma_f32 v60, v58, s4, -v6
	v_mul_f32_e32 v56, 0xbf737871, v56
	s_movk_i32 s10, 0x48
	v_mul_f32_e32 v19, 0x3f4f1bbd, v39
	v_add_f32_e32 v6, v45, v60
	v_fmac_f32_e32 v56, 0x3e9e377a, v18
	v_sub_f32_e32 v18, v45, v60
	v_mad_u32_u24 v45, v40, s10, v51
	v_fmac_f32_e32 v19, 0x3f167918, v22
	v_mul_f32_e32 v61, 0xbf167918, v39
	s_barrier
	ds_write2_b64 v45, v[32:33], v[36:37] offset1:1
	ds_write2_b64 v45, v[24:25], v[28:29] offset0:2 offset1:3
	ds_write2_b64 v45, v[20:21], v[16:17] offset0:4 offset1:5
	;; [unrolled: 1-line block ×4, first 2 shown]
	v_mul_i32_i24_e32 v0, 10, v44
	s_movk_i32 s10, 0xcd
	v_add_f32_e32 v38, v52, v19
	v_fmac_f32_e32 v61, 0x3f4f1bbd, v22
	v_sub_f32_e32 v22, v52, v19
	v_lshl_add_u32 v52, v0, 3, 0
	v_mul_lo_u16_sdwa v0, v40, s10 dst_sel:DWORD dst_unused:UNUSED_PAD src0_sel:BYTE_0 src1_sel:DWORD
	v_lshrrev_b16_e32 v63, 11, v0
	v_mul_f32_e32 v7, 0x3e9e377a, v7
	v_mul_lo_u16_e32 v0, 10, v63
	v_fma_f32 v55, v55, s7, -v7
	v_mul_f32_e32 v7, 0x3f4f1bbd, v58
	v_sub_u16_e32 v62, v40, v0
	v_mov_b32_e32 v0, 9
	v_fma_f32 v58, v31, s6, -v7
	v_mul_u32_u24_sdwa v0, v62, v0 dst_sel:DWORD dst_unused:UNUSED_PAD src0_sel:BYTE_0 src1_sel:DWORD
	v_add_f32_e32 v34, v30, v26
	v_add_f32_e32 v14, v2, v59
	;; [unrolled: 1-line block ×6, first 2 shown]
	v_sub_f32_e32 v2, v2, v59
	v_sub_f32_e32 v3, v3, v55
	v_lshlrev_b32_e32 v0, 3, v0
	v_add_f32_e32 v10, v53, v23
	v_add_f32_e32 v11, v27, v56
	v_sub_f32_e32 v30, v30, v26
	v_sub_f32_e32 v26, v53, v23
	;; [unrolled: 1-line block ×6, first 2 shown]
	ds_write2_b64 v52, v[34:35], v[38:39] offset1:1
	ds_write2_b64 v52, v[10:11], v[14:15] offset0:2 offset1:3
	ds_write2_b64 v52, v[6:7], v[30:31] offset0:4 offset1:5
	;; [unrolled: 1-line block ×4, first 2 shown]
	s_waitcnt lgkmcnt(0)
	s_barrier
	global_load_dwordx4 v[2:5], v0, s[8:9]
	global_load_dwordx4 v[6:9], v0, s[8:9] offset:16
	s_mov_b32 s10, 0xcccd
	v_mul_u32_u24_sdwa v1, v44, s10 dst_sel:DWORD dst_unused:UNUSED_PAD src0_sel:WORD_0 src1_sel:DWORD
	v_lshrrev_b32_e32 v49, 19, v1
	v_mul_lo_u16_e32 v1, 10, v49
	v_sub_u16_e32 v50, v44, v1
	v_mul_u32_u24_e32 v1, 9, v50
	v_lshlrev_b32_e32 v16, 3, v1
	global_load_dwordx4 v[18:21], v16, s[8:9] offset:16
	global_load_dwordx4 v[26:29], v0, s[8:9] offset:32
	;; [unrolled: 1-line block ×4, first 2 shown]
	global_load_dwordx4 v[64:67], v16, s[8:9]
	global_load_dwordx2 v[38:39], v0, s[8:9] offset:64
	global_load_dwordx4 v[68:71], v16, s[8:9] offset:48
	v_lshl_add_u32 v54, v48, 3, 0
	ds_read_b64 v[14:15], v54
	v_add_u32_e32 v56, 0x1e00, v51
	v_lshl_add_u32 v53, v46, 3, 0
	ds_read2_b64 v[10:13], v56 offset0:40 offset1:240
	v_add_u32_e32 v55, 0x2b00, v51
	s_movk_i32 s10, 0xffb8
	ds_read2_b64 v[72:75], v55 offset0:24 offset1:224
	v_mad_i32_i24 v45, v44, s10, v52
	ds_read_b64 v[22:23], v53
	ds_read_b64 v[0:1], v45
	ds_read_b64 v[80:81], v51 offset:30400
	global_load_dwordx2 v[82:83], v16, s[8:9] offset:64
	v_add_u32_e32 v57, 0x3800, v51
	ds_read2_b64 v[76:79], v57 offset0:8 offset1:208
	v_add_u32_e32 v59, 0x4400, v51
	v_add_u32_e32 v58, 0x5000, v51
	;; [unrolled: 1-line block ×4, first 2 shown]
	v_mul_u32_u24_e32 v63, 0x320, v63
	s_movk_i32 s10, 0x64
	v_cmp_gt_u32_e32 vcc, s10, v40
	s_waitcnt vmcnt(9) lgkmcnt(6)
	v_mul_f32_e32 v16, v3, v15
	v_mul_f32_e32 v17, v3, v14
	v_fma_f32 v16, v2, v14, -v16
	v_fmac_f32_e32 v17, v2, v15
	s_waitcnt lgkmcnt(3)
	v_mul_f32_e32 v2, v5, v23
	v_fma_f32 v84, v4, v22, -v2
	s_waitcnt vmcnt(8)
	v_mul_f32_e32 v2, v7, v13
	v_mul_f32_e32 v85, v5, v22
	v_fma_f32 v86, v6, v12, -v2
	v_mul_f32_e32 v2, v75, v9
	v_fmac_f32_e32 v85, v4, v23
	v_fma_f32 v87, v74, v8, -v2
	v_mul_f32_e32 v88, v74, v9
	s_waitcnt vmcnt(7)
	v_mul_f32_e32 v2, v73, v19
	v_mul_f32_e32 v4, v72, v19
	;; [unrolled: 1-line block ×3, first 2 shown]
	v_fmac_f32_e32 v88, v75, v8
	v_fma_f32 v7, v72, v18, -v2
	v_fmac_f32_e32 v4, v73, v18
	ds_read2_b64 v[72:75], v59 offset0:24 offset1:224
	s_waitcnt lgkmcnt(1)
	v_mul_f32_e32 v2, v77, v21
	v_fma_f32 v14, v76, v20, -v2
	s_waitcnt vmcnt(6)
	v_mul_f32_e32 v2, v79, v27
	v_mul_f32_e32 v12, v76, v21
	v_fma_f32 v76, v78, v26, -v2
	s_waitcnt lgkmcnt(0)
	v_mul_f32_e32 v2, v75, v29
	v_fmac_f32_e32 v12, v77, v20
	v_mul_f32_e32 v77, v78, v27
	v_fma_f32 v78, v74, v28, -v2
	v_mul_f32_e32 v74, v74, v29
	v_fmac_f32_e32 v77, v79, v26
	v_fmac_f32_e32 v74, v75, v28
	ds_read2_b64 v[26:29], v58 offset0:40 offset1:240
	s_waitcnt vmcnt(5)
	v_mul_f32_e32 v2, v73, v31
	v_fma_f32 v9, v72, v30, -v2
	ds_read_b64 v[2:3], v51 offset:4800
	v_mul_f32_e32 v8, v72, v31
	s_waitcnt lgkmcnt(1)
	v_mul_f32_e32 v5, v27, v33
	v_fma_f32 v22, v26, v32, -v5
	v_mul_f32_e32 v20, v26, v33
	s_waitcnt vmcnt(4)
	v_mul_f32_e32 v5, v29, v35
	v_mul_f32_e32 v35, v28, v35
	v_fmac_f32_e32 v20, v27, v32
	v_fma_f32 v72, v28, v34, -v5
	v_fmac_f32_e32 v35, v29, v34
	ds_read2_b64 v[26:29], v60 offset0:24 offset1:224
	s_waitcnt vmcnt(3)
	v_mul_f32_e32 v5, v11, v67
	v_fma_f32 v23, v10, v66, -v5
	s_waitcnt lgkmcnt(1)
	v_mul_f32_e32 v5, v3, v65
	v_fmac_f32_e32 v25, v6, v13
	v_fma_f32 v5, v2, v64, -v5
	v_mul_f32_e32 v6, v2, v65
	s_waitcnt lgkmcnt(0)
	v_mul_f32_e32 v2, v29, v37
	v_fmac_f32_e32 v6, v3, v64
	v_fma_f32 v34, v28, v36, -v2
	ds_read_b64 v[2:3], v51
	v_fmac_f32_e32 v8, v73, v30
	ds_read2_b64 v[30:33], v61 offset0:8 offset1:208
	v_mul_f32_e32 v21, v10, v67
	v_mul_f32_e32 v28, v28, v37
	s_waitcnt lgkmcnt(1)
	v_add_f32_e32 v18, v2, v84
	v_add_f32_e32 v18, v18, v87
	;; [unrolled: 1-line block ×3, first 2 shown]
	s_waitcnt vmcnt(2) lgkmcnt(0)
	v_mul_f32_e32 v10, v33, v39
	v_add_f32_e32 v19, v18, v34
	v_add_f32_e32 v18, v87, v78
	v_fmac_f32_e32 v28, v29, v36
	v_fma_f32 v29, v32, v38, -v10
	s_waitcnt vmcnt(1)
	v_mul_f32_e32 v10, v27, v69
	v_fma_f32 v18, -0.5, v18, v2
	v_fmac_f32_e32 v21, v11, v66
	v_fma_f32 v13, v26, v68, -v10
	v_mul_f32_e32 v10, v26, v69
	v_mul_f32_e32 v11, v31, v71
	;; [unrolled: 1-line block ×3, first 2 shown]
	v_sub_f32_e32 v26, v85, v28
	v_mov_b32_e32 v24, v18
	v_fmac_f32_e32 v10, v27, v68
	v_fma_f32 v65, v30, v70, -v11
	v_fmac_f32_e32 v64, v31, v70
	v_fmac_f32_e32 v24, 0x3f737871, v26
	v_sub_f32_e32 v27, v88, v74
	v_sub_f32_e32 v30, v84, v87
	;; [unrolled: 1-line block ×3, first 2 shown]
	v_fmac_f32_e32 v18, 0xbf737871, v26
	v_fmac_f32_e32 v24, 0x3f167918, v27
	v_add_f32_e32 v30, v30, v31
	v_fmac_f32_e32 v18, 0xbf167918, v27
	v_fmac_f32_e32 v24, 0x3e9e377a, v30
	;; [unrolled: 1-line block ×3, first 2 shown]
	v_add_f32_e32 v30, v84, v34
	v_mul_f32_e32 v32, v32, v39
	v_fma_f32 v2, -0.5, v30, v2
	v_fmac_f32_e32 v32, v33, v38
	v_mov_b32_e32 v33, v2
	v_fmac_f32_e32 v33, 0xbf737871, v27
	v_fmac_f32_e32 v2, 0x3f737871, v27
	;; [unrolled: 1-line block ×4, first 2 shown]
	v_add_f32_e32 v26, v3, v85
	v_add_f32_e32 v26, v26, v88
	;; [unrolled: 1-line block ×5, first 2 shown]
	v_sub_f32_e32 v30, v87, v84
	v_sub_f32_e32 v31, v78, v34
	v_fma_f32 v66, -0.5, v26, v3
	v_add_f32_e32 v30, v30, v31
	v_sub_f32_e32 v26, v84, v34
	v_mov_b32_e32 v67, v66
	v_fmac_f32_e32 v33, 0x3e9e377a, v30
	v_fmac_f32_e32 v2, 0x3e9e377a, v30
	;; [unrolled: 1-line block ×3, first 2 shown]
	v_sub_f32_e32 v30, v87, v78
	v_sub_f32_e32 v31, v85, v88
	;; [unrolled: 1-line block ×3, first 2 shown]
	v_fmac_f32_e32 v66, 0x3f737871, v26
	v_fmac_f32_e32 v67, 0xbf167918, v30
	v_add_f32_e32 v31, v31, v34
	v_fmac_f32_e32 v66, 0x3f167918, v30
	v_fmac_f32_e32 v67, 0x3e9e377a, v31
	;; [unrolled: 1-line block ×3, first 2 shown]
	v_add_f32_e32 v31, v85, v28
	v_fmac_f32_e32 v3, -0.5, v31
	v_mov_b32_e32 v68, v3
	v_fmac_f32_e32 v68, 0x3f737871, v30
	v_sub_f32_e32 v31, v88, v85
	v_sub_f32_e32 v28, v74, v28
	v_fmac_f32_e32 v3, 0xbf737871, v30
	v_fmac_f32_e32 v68, 0xbf167918, v26
	v_add_f32_e32 v28, v31, v28
	v_fmac_f32_e32 v3, 0x3f167918, v26
	v_fmac_f32_e32 v68, 0x3e9e377a, v28
	;; [unrolled: 1-line block ×3, first 2 shown]
	v_add_f32_e32 v28, v76, v72
	v_fma_f32 v69, -0.5, v28, v16
	v_sub_f32_e32 v28, v25, v32
	v_mov_b32_e32 v31, v69
	v_fmac_f32_e32 v31, 0x3f737871, v28
	v_sub_f32_e32 v30, v77, v35
	v_sub_f32_e32 v34, v86, v76
	;; [unrolled: 1-line block ×3, first 2 shown]
	v_fmac_f32_e32 v69, 0xbf737871, v28
	v_fmac_f32_e32 v31, 0x3f167918, v30
	v_add_f32_e32 v34, v34, v36
	v_fmac_f32_e32 v69, 0xbf167918, v30
	v_fmac_f32_e32 v31, 0x3e9e377a, v34
	;; [unrolled: 1-line block ×3, first 2 shown]
	v_add_f32_e32 v34, v86, v29
	v_add_f32_e32 v26, v16, v86
	v_fmac_f32_e32 v16, -0.5, v34
	v_mov_b32_e32 v37, v16
	v_fmac_f32_e32 v37, 0xbf737871, v30
	v_fmac_f32_e32 v16, 0x3f737871, v30
	;; [unrolled: 1-line block ×4, first 2 shown]
	v_add_f32_e32 v28, v17, v25
	v_add_f32_e32 v28, v28, v77
	;; [unrolled: 1-line block ×7, first 2 shown]
	v_sub_f32_e32 v34, v76, v86
	v_sub_f32_e32 v36, v72, v29
	v_fma_f32 v71, -0.5, v28, v17
	v_add_f32_e32 v26, v26, v29
	v_add_f32_e32 v34, v34, v36
	v_sub_f32_e32 v28, v86, v29
	v_mov_b32_e32 v29, v71
	v_fmac_f32_e32 v37, 0x3e9e377a, v34
	v_fmac_f32_e32 v16, 0x3e9e377a, v34
	;; [unrolled: 1-line block ×3, first 2 shown]
	v_sub_f32_e32 v30, v76, v72
	v_sub_f32_e32 v34, v25, v77
	;; [unrolled: 1-line block ×3, first 2 shown]
	v_fmac_f32_e32 v71, 0x3f737871, v28
	v_fmac_f32_e32 v29, 0xbf167918, v30
	v_add_f32_e32 v34, v34, v36
	v_fmac_f32_e32 v71, 0x3f167918, v30
	v_fmac_f32_e32 v29, 0x3e9e377a, v34
	;; [unrolled: 1-line block ×3, first 2 shown]
	v_add_f32_e32 v34, v25, v32
	v_fmac_f32_e32 v17, -0.5, v34
	v_mov_b32_e32 v39, v17
	v_sub_f32_e32 v25, v77, v25
	v_sub_f32_e32 v32, v35, v32
	v_fmac_f32_e32 v17, 0xbf737871, v30
	v_fmac_f32_e32 v39, 0x3f737871, v30
	v_add_f32_e32 v25, v25, v32
	v_fmac_f32_e32 v17, 0x3f167918, v28
	v_fmac_f32_e32 v39, 0xbf167918, v28
	;; [unrolled: 1-line block ×3, first 2 shown]
	v_mul_f32_e32 v28, 0x3e9e377a, v16
	v_fma_f32 v73, v17, s5, -v28
	v_mul_f32_e32 v17, 0x3e9e377a, v17
	v_fma_f32 v17, v16, s7, -v17
	v_fmac_f32_e32 v39, 0x3e9e377a, v25
	v_mul_f32_e32 v25, 0x3f167918, v29
	v_mul_f32_e32 v75, 0xbf167918, v31
	v_add_f32_e32 v35, v3, v17
	v_mul_f32_e32 v16, 0x3f4f1bbd, v71
	v_sub_f32_e32 v17, v3, v17
	v_add_f32_e32 v3, v14, v22
	v_fmac_f32_e32 v25, 0x3f4f1bbd, v31
	v_mul_f32_e32 v72, 0x3f737871, v39
	v_mul_f32_e32 v28, 0x3f4f1bbd, v69
	v_fmac_f32_e32 v75, 0x3f4f1bbd, v29
	v_mul_f32_e32 v76, 0xbf737871, v37
	v_fma_f32 v69, v69, s6, -v16
	v_fma_f32 v3, -0.5, v3, v0
	v_add_f32_e32 v36, v19, v26
	v_add_f32_e32 v38, v24, v25
	v_fmac_f32_e32 v72, 0x3e9e377a, v37
	v_fmac_f32_e32 v76, 0x3e9e377a, v39
	v_add_f32_e32 v39, v67, v75
	v_add_f32_e32 v29, v66, v69
	v_sub_f32_e32 v32, v19, v26
	v_sub_f32_e32 v24, v24, v25
	;; [unrolled: 1-line block ×5, first 2 shown]
	v_mov_b32_e32 v67, v3
	v_add_f32_e32 v30, v33, v72
	v_add_f32_e32 v37, v27, v70
	;; [unrolled: 1-line block ×3, first 2 shown]
	v_sub_f32_e32 v26, v33, v72
	v_sub_f32_e32 v33, v27, v70
	;; [unrolled: 1-line block ×3, first 2 shown]
	v_fmac_f32_e32 v67, 0x3f737871, v66
	v_sub_f32_e32 v68, v12, v20
	v_sub_f32_e32 v69, v23, v14
	;; [unrolled: 1-line block ×3, first 2 shown]
	v_fmac_f32_e32 v3, 0xbf737871, v66
	v_fmac_f32_e32 v67, 0x3f167918, v68
	v_add_f32_e32 v69, v69, v70
	v_fmac_f32_e32 v3, 0xbf167918, v68
	v_fmac_f32_e32 v67, 0x3e9e377a, v69
	;; [unrolled: 1-line block ×3, first 2 shown]
	v_add_f32_e32 v69, v23, v65
	v_add_f32_e32 v34, v2, v73
	v_sub_f32_e32 v16, v2, v73
	v_add_f32_e32 v2, v0, v23
	v_fma_f32 v0, -0.5, v69, v0
	v_mov_b32_e32 v69, v0
	v_add_f32_e32 v2, v2, v14
	v_fmac_f32_e32 v69, 0xbf737871, v68
	v_fmac_f32_e32 v0, 0x3f737871, v68
	v_add_f32_e32 v68, v12, v20
	v_fma_f32 v74, v71, s4, -v28
	v_add_f32_e32 v2, v2, v22
	v_sub_f32_e32 v70, v14, v23
	v_sub_f32_e32 v71, v22, v65
	v_fma_f32 v68, -0.5, v68, v1
	v_add_f32_e32 v2, v2, v65
	v_fmac_f32_e32 v69, 0x3f167918, v66
	v_add_f32_e32 v70, v70, v71
	v_fmac_f32_e32 v0, 0xbf167918, v66
	v_sub_f32_e32 v23, v23, v65
	v_mov_b32_e32 v65, v68
	v_fmac_f32_e32 v69, 0x3e9e377a, v70
	v_fmac_f32_e32 v0, 0x3e9e377a, v70
	;; [unrolled: 1-line block ×3, first 2 shown]
	v_sub_f32_e32 v14, v14, v22
	v_sub_f32_e32 v22, v21, v12
	;; [unrolled: 1-line block ×3, first 2 shown]
	v_fmac_f32_e32 v68, 0x3f737871, v23
	v_fmac_f32_e32 v65, 0xbf167918, v14
	v_add_f32_e32 v22, v22, v70
	v_fmac_f32_e32 v68, 0x3f167918, v14
	v_fmac_f32_e32 v65, 0x3e9e377a, v22
	;; [unrolled: 1-line block ×3, first 2 shown]
	v_add_f32_e32 v22, v21, v64
	v_add_f32_e32 v66, v1, v21
	v_fmac_f32_e32 v1, -0.5, v22
	v_add_f32_e32 v66, v66, v12
	v_mov_b32_e32 v70, v1
	v_add_f32_e32 v66, v66, v20
	v_fmac_f32_e32 v70, 0x3f737871, v14
	v_sub_f32_e32 v12, v12, v21
	v_sub_f32_e32 v20, v20, v64
	v_fmac_f32_e32 v1, 0xbf737871, v14
	v_fmac_f32_e32 v70, 0xbf167918, v23
	v_add_f32_e32 v12, v12, v20
	v_fmac_f32_e32 v1, 0x3f167918, v23
	v_fmac_f32_e32 v70, 0x3e9e377a, v12
	;; [unrolled: 1-line block ×3, first 2 shown]
	v_add_f32_e32 v12, v5, v7
	s_waitcnt vmcnt(0)
	v_mul_f32_e32 v11, v81, v83
	v_add_f32_e32 v12, v12, v9
	v_fma_f32 v15, v80, v82, -v11
	v_add_f32_e32 v12, v12, v13
	v_mul_f32_e32 v11, v80, v83
	v_add_f32_e32 v66, v66, v64
	v_add_f32_e32 v64, v12, v15
	v_add_f32_e32 v12, v9, v13
	v_fmac_f32_e32 v11, v81, v82
	v_fma_f32 v71, -0.5, v12, v5
	v_sub_f32_e32 v12, v4, v11
	v_mov_b32_e32 v21, v71
	v_fmac_f32_e32 v21, 0x3f737871, v12
	v_sub_f32_e32 v14, v8, v10
	v_sub_f32_e32 v20, v7, v9
	;; [unrolled: 1-line block ×3, first 2 shown]
	v_fmac_f32_e32 v71, 0xbf737871, v12
	v_fmac_f32_e32 v21, 0x3f167918, v14
	v_add_f32_e32 v20, v20, v22
	v_fmac_f32_e32 v71, 0xbf167918, v14
	v_fmac_f32_e32 v21, 0x3e9e377a, v20
	;; [unrolled: 1-line block ×3, first 2 shown]
	v_add_f32_e32 v20, v7, v15
	v_fmac_f32_e32 v5, -0.5, v20
	v_mov_b32_e32 v23, v5
	v_fmac_f32_e32 v23, 0xbf737871, v14
	v_fmac_f32_e32 v5, 0x3f737871, v14
	;; [unrolled: 1-line block ×4, first 2 shown]
	v_add_f32_e32 v12, v6, v4
	v_add_f32_e32 v12, v12, v8
	;; [unrolled: 1-line block ×5, first 2 shown]
	v_fma_f32 v73, -0.5, v12, v6
	v_sub_f32_e32 v20, v9, v7
	v_sub_f32_e32 v22, v13, v15
	;; [unrolled: 1-line block ×3, first 2 shown]
	v_mov_b32_e32 v15, v73
	v_fmac_f32_e32 v15, 0xbf737871, v7
	v_sub_f32_e32 v9, v9, v13
	v_sub_f32_e32 v12, v4, v8
	;; [unrolled: 1-line block ×3, first 2 shown]
	v_fmac_f32_e32 v73, 0x3f737871, v7
	v_fmac_f32_e32 v15, 0xbf167918, v9
	v_add_f32_e32 v12, v12, v13
	v_fmac_f32_e32 v73, 0x3f167918, v9
	v_fmac_f32_e32 v15, 0x3e9e377a, v12
	;; [unrolled: 1-line block ×3, first 2 shown]
	v_add_f32_e32 v12, v4, v11
	v_fmac_f32_e32 v6, -0.5, v12
	v_mov_b32_e32 v13, v6
	v_add_f32_e32 v20, v20, v22
	v_fmac_f32_e32 v13, 0x3f737871, v9
	v_sub_f32_e32 v4, v8, v4
	v_sub_f32_e32 v8, v10, v11
	v_fmac_f32_e32 v6, 0xbf737871, v9
	v_fmac_f32_e32 v23, 0x3e9e377a, v20
	v_fmac_f32_e32 v5, 0x3e9e377a, v20
	v_fmac_f32_e32 v13, 0xbf167918, v7
	v_add_f32_e32 v4, v4, v8
	v_fmac_f32_e32 v6, 0x3f167918, v7
	v_add_f32_e32 v20, v2, v64
	v_sub_f32_e32 v10, v2, v64
	v_mov_b32_e32 v64, 3
	v_fmac_f32_e32 v13, 0x3e9e377a, v4
	v_fmac_f32_e32 v6, 0x3e9e377a, v4
	v_mul_f32_e32 v4, 0x3e9e377a, v5
	v_lshlrev_b32_sdwa v62, v64, v62 dst_sel:DWORD dst_unused:UNUSED_PAD src0_sel:DWORD src1_sel:BYTE_0
	v_add_f32_e32 v28, v18, v74
	v_sub_f32_e32 v18, v18, v74
	v_mul_f32_e32 v7, 0x3f167918, v15
	v_fma_f32 v9, v6, s5, -v4
	v_mul_f32_e32 v74, 0xbf167918, v21
	v_mul_f32_e32 v6, 0x3e9e377a, v6
	v_add3_u32 v62, 0, v63, v62
	v_fmac_f32_e32 v7, 0x3f4f1bbd, v21
	v_mul_f32_e32 v8, 0x3f737871, v13
	v_mul_f32_e32 v4, 0x3f4f1bbd, v71
	v_fmac_f32_e32 v74, 0x3f4f1bbd, v15
	v_mul_f32_e32 v75, 0xbf737871, v23
	v_fma_f32 v76, v5, s7, -v6
	v_mul_f32_e32 v5, 0x3f4f1bbd, v73
	s_barrier
	ds_write2_b64 v62, v[36:37], v[38:39] offset1:10
	ds_write2_b64 v62, v[30:31], v[34:35] offset0:20 offset1:30
	ds_write2_b64 v62, v[28:29], v[32:33] offset0:40 offset1:50
	;; [unrolled: 1-line block ×4, first 2 shown]
	v_mul_u32_u24_e32 v16, 0x320, v49
	v_lshlrev_b32_e32 v17, 3, v50
	v_add_f32_e32 v22, v67, v7
	v_fmac_f32_e32 v8, 0x3e9e377a, v23
	v_add_f32_e32 v14, v0, v9
	v_fma_f32 v11, v73, s4, -v4
	v_fmac_f32_e32 v75, 0x3e9e377a, v13
	v_add_f32_e32 v21, v66, v72
	v_add_f32_e32 v23, v65, v74
	v_fma_f32 v71, v71, s6, -v5
	v_sub_f32_e32 v0, v0, v9
	v_add3_u32 v16, 0, v16, v17
	v_add_f32_e32 v12, v69, v8
	v_add_f32_e32 v4, v3, v11
	v_add_f32_e32 v13, v70, v75
	v_add_f32_e32 v15, v1, v76
	v_add_f32_e32 v5, v68, v71
	v_sub_f32_e32 v6, v67, v7
	v_sub_f32_e32 v8, v69, v8
	;; [unrolled: 1-line block ×8, first 2 shown]
	ds_write2_b64 v16, v[20:21], v[22:23] offset1:10
	ds_write2_b64 v16, v[12:13], v[14:15] offset0:20 offset1:30
	ds_write2_b64 v16, v[4:5], v[10:11] offset0:40 offset1:50
	;; [unrolled: 1-line block ×4, first 2 shown]
	v_add_u32_e32 v0, 0xffffff9c, v40
	v_cndmask_b32_e32 v64, v0, v40, vcc
	v_mul_i32_i24_e32 v0, 9, v64
	v_mov_b32_e32 v1, 0
	v_lshlrev_b64 v[2:3], 3, v[0:1]
	v_mov_b32_e32 v62, s9
	v_add_co_u32_e32 v49, vcc, s8, v2
	v_addc_co_u32_e32 v50, vcc, v62, v3, vcc
	v_lshrrev_b16_e32 v0, 2, v44
	s_waitcnt lgkmcnt(0)
	s_barrier
	global_load_dwordx4 v[4:7], v[49:50], off offset:720
	global_load_dwordx4 v[13:16], v[49:50], off offset:736
	v_mul_u32_u24_e32 v0, 0x147b, v0
	v_lshrrev_b32_e32 v0, 17, v0
	v_mul_lo_u16_e32 v2, 0x64, v0
	v_sub_u16_e32 v63, v44, v2
	v_mul_u32_u24_e32 v2, 9, v63
	v_lshlrev_b32_e32 v79, 3, v2
	global_load_dwordx4 v[17:20], v79, s[8:9] offset:736
	global_load_dwordx4 v[21:24], v[49:50], off offset:752
	global_load_dwordx4 v[25:28], v[49:50], off offset:768
	global_load_dwordx4 v[32:35], v79, s[8:9] offset:752
	ds_read_b64 v[8:9], v54
	ds_read2_b64 v[36:39], v56 offset0:40 offset1:240
	ds_read2_b64 v[65:68], v55 offset0:24 offset1:224
	;; [unrolled: 1-line block ×3, first 2 shown]
	ds_read_b64 v[29:30], v53
	ds_read_b64 v[2:3], v45
	ds_read_b64 v[77:78], v51 offset:30400
	ds_read2_b64 v[73:76], v59 offset0:24 offset1:224
	v_lshlrev_b32_e32 v64, 3, v64
	v_mul_u32_u24_e32 v0, 0x1f40, v0
	s_waitcnt vmcnt(5) lgkmcnt(7)
	v_mul_f32_e32 v10, v5, v9
	v_mul_f32_e32 v11, v5, v8
	v_fma_f32 v10, v4, v8, -v10
	v_fmac_f32_e32 v11, v4, v9
	s_waitcnt lgkmcnt(3)
	v_mul_f32_e32 v4, v7, v30
	v_fma_f32 v80, v6, v29, -v4
	v_mul_f32_e32 v81, v7, v29
	s_waitcnt vmcnt(4)
	v_mul_f32_e32 v4, v14, v39
	v_fmac_f32_e32 v81, v6, v30
	v_fma_f32 v30, v13, v38, -v4
	v_mul_f32_e32 v12, v14, v38
	v_mul_f32_e32 v4, v16, v68
	v_fmac_f32_e32 v12, v13, v39
	v_fma_f32 v39, v15, v67, -v4
	s_waitcnt vmcnt(3)
	v_mul_f32_e32 v4, v66, v18
	v_fma_f32 v7, v65, v17, -v4
	v_mul_f32_e32 v6, v65, v18
	v_mul_f32_e32 v4, v70, v20
	v_fmac_f32_e32 v6, v66, v17
	v_fma_f32 v17, v69, v19, -v4
	v_mul_f32_e32 v14, v69, v20
	s_waitcnt vmcnt(2)
	v_mul_f32_e32 v4, v72, v22
	v_mul_f32_e32 v13, v71, v22
	v_fmac_f32_e32 v14, v70, v19
	v_fma_f32 v31, v71, v21, -v4
	v_fmac_f32_e32 v13, v72, v21
	global_load_dwordx4 v[69:72], v79, s[8:9] offset:720
	v_mul_f32_e32 v82, v16, v67
	v_fmac_f32_e32 v82, v15, v68
	ds_read2_b64 v[65:68], v58 offset0:40 offset1:240
	s_waitcnt lgkmcnt(1)
	v_mul_f32_e32 v4, v76, v24
	v_mul_f32_e32 v84, v75, v24
	v_fma_f32 v83, v75, v23, -v4
	v_fmac_f32_e32 v84, v76, v23
	ds_read2_b64 v[20:23], v60 offset0:24 offset1:224
	s_waitcnt vmcnt(1)
	v_mul_f32_e32 v5, v74, v33
	v_mul_f32_e32 v8, v73, v33
	v_fma_f32 v9, v73, v32, -v5
	v_fmac_f32_e32 v8, v74, v32
	global_load_dwordx4 v[73:76], v79, s[8:9] offset:768
	s_waitcnt lgkmcnt(1)
	v_mul_f32_e32 v5, v66, v35
	v_mul_f32_e32 v18, v65, v35
	v_mul_f32_e32 v4, v68, v26
	v_fma_f32 v19, v65, v34, -v5
	v_fmac_f32_e32 v18, v66, v34
	global_load_dwordx2 v[33:34], v[49:50], off offset:784
	v_fma_f32 v32, v67, v25, -v4
	s_waitcnt lgkmcnt(0)
	v_mul_f32_e32 v4, v23, v28
	v_mul_f32_e32 v50, v22, v28
	v_fma_f32 v49, v22, v27, -v4
	v_fmac_f32_e32 v50, v23, v27
	global_load_dwordx2 v[27:28], v79, s[8:9] offset:784
	v_mul_f32_e32 v26, v67, v26
	v_fmac_f32_e32 v26, v68, v25
	s_waitcnt vmcnt(3)
	v_mul_f32_e32 v4, v37, v72
	v_fma_f32 v25, v36, v71, -v4
	ds_read_b64 v[4:5], v51 offset:4800
	v_mul_f32_e32 v24, v36, v72
	v_fmac_f32_e32 v24, v37, v71
	ds_read2_b64 v[35:38], v61 offset0:8 offset1:208
	s_waitcnt lgkmcnt(1)
	v_mul_f32_e32 v15, v5, v70
	v_fma_f32 v15, v4, v69, -v15
	v_mul_f32_e32 v16, v4, v70
	v_fmac_f32_e32 v16, v5, v69
	s_waitcnt vmcnt(2)
	v_mul_f32_e32 v4, v21, v74
	v_fma_f32 v22, v20, v73, -v4
	v_mul_f32_e32 v20, v20, v74
	ds_read_b64 v[4:5], v51
	v_fmac_f32_e32 v20, v21, v73
	s_waitcnt lgkmcnt(1)
	v_mul_f32_e32 v65, v35, v76
	s_waitcnt vmcnt(1)
	v_mul_f32_e32 v21, v38, v34
	v_fma_f32 v67, v37, v33, -v21
	v_mul_f32_e32 v21, v36, v76
	v_fma_f32 v66, v35, v75, -v21
	v_mul_f32_e32 v34, v37, v34
	v_sub_f32_e32 v35, v81, v50
	s_waitcnt vmcnt(0)
	v_mul_f32_e32 v21, v78, v28
	v_fma_f32 v23, v77, v27, -v21
	v_mul_f32_e32 v21, v77, v28
	v_fmac_f32_e32 v21, v78, v27
	s_waitcnt lgkmcnt(0)
	v_add_f32_e32 v27, v4, v80
	v_add_f32_e32 v27, v27, v39
	;; [unrolled: 1-line block ×5, first 2 shown]
	v_fma_f32 v27, -0.5, v27, v4
	v_mov_b32_e32 v29, v27
	v_fmac_f32_e32 v34, v38, v33
	v_fmac_f32_e32 v65, v36, v75
	;; [unrolled: 1-line block ×3, first 2 shown]
	v_sub_f32_e32 v36, v82, v84
	v_sub_f32_e32 v33, v80, v39
	v_sub_f32_e32 v37, v49, v83
	v_fmac_f32_e32 v27, 0xbf737871, v35
	v_fmac_f32_e32 v29, 0x3f167918, v36
	v_add_f32_e32 v33, v33, v37
	v_fmac_f32_e32 v27, 0xbf167918, v36
	v_fmac_f32_e32 v29, 0x3e9e377a, v33
	;; [unrolled: 1-line block ×3, first 2 shown]
	v_add_f32_e32 v33, v80, v49
	v_fma_f32 v4, -0.5, v33, v4
	v_mov_b32_e32 v33, v4
	v_fmac_f32_e32 v33, 0xbf737871, v36
	v_fmac_f32_e32 v4, 0x3f737871, v36
	;; [unrolled: 1-line block ×4, first 2 shown]
	v_add_f32_e32 v35, v5, v81
	v_add_f32_e32 v35, v35, v82
	;; [unrolled: 1-line block ×5, first 2 shown]
	v_sub_f32_e32 v37, v39, v80
	v_sub_f32_e32 v38, v83, v49
	v_fma_f32 v69, -0.5, v35, v5
	v_add_f32_e32 v37, v37, v38
	v_sub_f32_e32 v35, v80, v49
	v_mov_b32_e32 v70, v69
	v_fmac_f32_e32 v33, 0x3e9e377a, v37
	v_fmac_f32_e32 v4, 0x3e9e377a, v37
	;; [unrolled: 1-line block ×3, first 2 shown]
	v_sub_f32_e32 v36, v39, v83
	v_sub_f32_e32 v37, v81, v82
	;; [unrolled: 1-line block ×3, first 2 shown]
	v_fmac_f32_e32 v69, 0x3f737871, v35
	v_fmac_f32_e32 v70, 0xbf167918, v36
	v_add_f32_e32 v37, v37, v38
	v_fmac_f32_e32 v69, 0x3f167918, v36
	v_fmac_f32_e32 v70, 0x3e9e377a, v37
	;; [unrolled: 1-line block ×3, first 2 shown]
	v_add_f32_e32 v37, v81, v50
	v_fmac_f32_e32 v5, -0.5, v37
	v_mov_b32_e32 v71, v5
	v_fmac_f32_e32 v71, 0x3f737871, v36
	v_fmac_f32_e32 v5, 0xbf737871, v36
	;; [unrolled: 1-line block ×4, first 2 shown]
	v_add_f32_e32 v35, v10, v30
	v_add_f32_e32 v35, v35, v31
	;; [unrolled: 1-line block ×3, first 2 shown]
	v_sub_f32_e32 v37, v82, v81
	v_sub_f32_e32 v38, v84, v50
	v_add_f32_e32 v72, v35, v67
	v_add_f32_e32 v35, v31, v32
	;; [unrolled: 1-line block ×3, first 2 shown]
	v_fma_f32 v35, -0.5, v35, v10
	v_fmac_f32_e32 v71, 0x3e9e377a, v37
	v_fmac_f32_e32 v5, 0x3e9e377a, v37
	v_sub_f32_e32 v36, v12, v34
	v_mov_b32_e32 v37, v35
	v_fmac_f32_e32 v37, 0x3f737871, v36
	v_sub_f32_e32 v38, v13, v26
	v_sub_f32_e32 v39, v30, v31
	;; [unrolled: 1-line block ×3, first 2 shown]
	v_fmac_f32_e32 v35, 0xbf737871, v36
	v_fmac_f32_e32 v37, 0x3f167918, v38
	v_add_f32_e32 v39, v39, v49
	v_fmac_f32_e32 v35, 0xbf167918, v38
	v_fmac_f32_e32 v37, 0x3e9e377a, v39
	;; [unrolled: 1-line block ×3, first 2 shown]
	v_add_f32_e32 v39, v30, v67
	v_fmac_f32_e32 v10, -0.5, v39
	v_mov_b32_e32 v39, v10
	v_fmac_f32_e32 v39, 0xbf737871, v38
	v_fmac_f32_e32 v10, 0x3f737871, v38
	;; [unrolled: 1-line block ×4, first 2 shown]
	v_add_f32_e32 v36, v11, v12
	v_add_f32_e32 v36, v36, v13
	;; [unrolled: 1-line block ×3, first 2 shown]
	v_sub_f32_e32 v49, v31, v30
	v_sub_f32_e32 v50, v32, v67
	v_add_f32_e32 v73, v36, v34
	v_add_f32_e32 v36, v13, v26
	;; [unrolled: 1-line block ×3, first 2 shown]
	v_fma_f32 v50, -0.5, v36, v11
	v_sub_f32_e32 v30, v30, v67
	v_mov_b32_e32 v36, v50
	v_fmac_f32_e32 v36, 0xbf737871, v30
	v_sub_f32_e32 v31, v31, v32
	v_sub_f32_e32 v32, v12, v13
	v_sub_f32_e32 v38, v34, v26
	v_fmac_f32_e32 v50, 0x3f737871, v30
	v_fmac_f32_e32 v36, 0xbf167918, v31
	v_add_f32_e32 v32, v32, v38
	v_fmac_f32_e32 v50, 0x3f167918, v31
	v_fmac_f32_e32 v36, 0x3e9e377a, v32
	;; [unrolled: 1-line block ×3, first 2 shown]
	v_add_f32_e32 v32, v12, v34
	v_fmac_f32_e32 v11, -0.5, v32
	v_mov_b32_e32 v32, v11
	v_sub_f32_e32 v12, v13, v12
	v_sub_f32_e32 v13, v26, v34
	v_fmac_f32_e32 v11, 0xbf737871, v31
	v_fmac_f32_e32 v10, 0x3e9e377a, v49
	v_add_f32_e32 v12, v12, v13
	v_fmac_f32_e32 v11, 0x3f167918, v30
	v_fmac_f32_e32 v32, 0x3f737871, v31
	;; [unrolled: 1-line block ×3, first 2 shown]
	v_mul_f32_e32 v26, 0x3e9e377a, v10
	v_fmac_f32_e32 v32, 0xbf167918, v30
	v_fma_f32 v67, v11, s5, -v26
	v_mul_f32_e32 v11, 0x3e9e377a, v11
	v_fmac_f32_e32 v32, 0x3e9e377a, v12
	v_mul_f32_e32 v12, 0x3f167918, v36
	v_fma_f32 v11, v10, s7, -v11
	v_fmac_f32_e32 v39, 0x3e9e377a, v49
	v_fmac_f32_e32 v12, 0x3f4f1bbd, v37
	v_mul_f32_e32 v13, 0x3f737871, v32
	v_mul_f32_e32 v74, 0xbf167918, v37
	v_add_f32_e32 v37, v5, v11
	v_sub_f32_e32 v11, v5, v11
	v_add_f32_e32 v5, v17, v19
	v_fmac_f32_e32 v13, 0x3e9e377a, v39
	v_mul_f32_e32 v75, 0xbf737871, v39
	v_mul_f32_e32 v26, 0x3f4f1bbd, v35
	;; [unrolled: 1-line block ×3, first 2 shown]
	v_fma_f32 v5, -0.5, v5, v2
	v_add_f32_e32 v38, v28, v72
	v_add_f32_e32 v34, v33, v13
	v_fmac_f32_e32 v74, 0x3f4f1bbd, v36
	v_add_f32_e32 v36, v4, v67
	v_fmac_f32_e32 v75, 0x3e9e377a, v32
	v_fma_f32 v76, v50, s4, -v26
	v_fma_f32 v77, v35, s6, -v10
	v_add_f32_e32 v39, v68, v73
	v_sub_f32_e32 v32, v28, v72
	v_sub_f32_e32 v28, v33, v13
	;; [unrolled: 1-line block ×5, first 2 shown]
	v_mov_b32_e32 v68, v5
	v_add_f32_e32 v49, v29, v12
	v_add_f32_e32 v30, v27, v76
	;; [unrolled: 1-line block ×5, first 2 shown]
	v_sub_f32_e32 v26, v29, v12
	v_sub_f32_e32 v12, v27, v76
	;; [unrolled: 1-line block ×5, first 2 shown]
	v_fmac_f32_e32 v68, 0x3f737871, v67
	v_sub_f32_e32 v69, v14, v18
	v_sub_f32_e32 v70, v25, v17
	;; [unrolled: 1-line block ×3, first 2 shown]
	v_fmac_f32_e32 v5, 0xbf737871, v67
	v_fmac_f32_e32 v68, 0x3f167918, v69
	v_add_f32_e32 v70, v70, v71
	v_fmac_f32_e32 v5, 0xbf167918, v69
	v_fmac_f32_e32 v68, 0x3e9e377a, v70
	;; [unrolled: 1-line block ×3, first 2 shown]
	v_add_f32_e32 v70, v25, v66
	v_add_f32_e32 v4, v2, v25
	v_fma_f32 v2, -0.5, v70, v2
	v_mov_b32_e32 v70, v2
	v_add_f32_e32 v4, v4, v17
	v_fmac_f32_e32 v70, 0xbf737871, v69
	v_fmac_f32_e32 v2, 0x3f737871, v69
	v_add_f32_e32 v69, v14, v18
	v_add_f32_e32 v4, v4, v19
	v_sub_f32_e32 v71, v17, v25
	v_sub_f32_e32 v72, v19, v66
	v_fma_f32 v69, -0.5, v69, v3
	v_add_f32_e32 v4, v4, v66
	v_fmac_f32_e32 v70, 0x3f167918, v67
	v_add_f32_e32 v71, v71, v72
	v_fmac_f32_e32 v2, 0xbf167918, v67
	v_sub_f32_e32 v25, v25, v66
	v_mov_b32_e32 v66, v69
	v_fmac_f32_e32 v70, 0x3e9e377a, v71
	v_fmac_f32_e32 v2, 0x3e9e377a, v71
	;; [unrolled: 1-line block ×3, first 2 shown]
	v_sub_f32_e32 v17, v17, v19
	v_sub_f32_e32 v19, v24, v14
	;; [unrolled: 1-line block ×3, first 2 shown]
	v_fmac_f32_e32 v69, 0x3f737871, v25
	v_fmac_f32_e32 v66, 0xbf167918, v17
	v_add_f32_e32 v19, v19, v71
	v_fmac_f32_e32 v69, 0x3f167918, v17
	v_fmac_f32_e32 v66, 0x3e9e377a, v19
	;; [unrolled: 1-line block ×3, first 2 shown]
	v_add_f32_e32 v19, v24, v65
	v_add_f32_e32 v67, v3, v24
	v_fmac_f32_e32 v3, -0.5, v19
	v_add_f32_e32 v67, v67, v14
	v_mov_b32_e32 v71, v3
	v_add_f32_e32 v67, v67, v18
	v_fmac_f32_e32 v71, 0x3f737871, v17
	v_sub_f32_e32 v14, v14, v24
	v_sub_f32_e32 v18, v18, v65
	v_fmac_f32_e32 v3, 0xbf737871, v17
	v_fmac_f32_e32 v71, 0xbf167918, v25
	v_add_f32_e32 v14, v14, v18
	v_fmac_f32_e32 v3, 0x3f167918, v25
	v_fmac_f32_e32 v71, 0x3e9e377a, v14
	;; [unrolled: 1-line block ×3, first 2 shown]
	v_add_f32_e32 v14, v15, v7
	v_add_f32_e32 v14, v14, v9
	;; [unrolled: 1-line block ×5, first 2 shown]
	v_fma_f32 v14, -0.5, v14, v15
	v_sub_f32_e32 v18, v6, v21
	v_mov_b32_e32 v19, v14
	v_add_f32_e32 v67, v67, v65
	v_fmac_f32_e32 v19, 0x3f737871, v18
	v_sub_f32_e32 v24, v8, v20
	v_sub_f32_e32 v25, v7, v9
	;; [unrolled: 1-line block ×3, first 2 shown]
	v_fmac_f32_e32 v14, 0xbf737871, v18
	v_fmac_f32_e32 v19, 0x3f167918, v24
	v_add_f32_e32 v25, v25, v65
	v_fmac_f32_e32 v14, 0xbf167918, v24
	v_fmac_f32_e32 v19, 0x3e9e377a, v25
	v_fmac_f32_e32 v14, 0x3e9e377a, v25
	v_add_f32_e32 v25, v7, v23
	v_fmac_f32_e32 v15, -0.5, v25
	v_mov_b32_e32 v25, v15
	v_fmac_f32_e32 v25, 0xbf737871, v24
	v_fmac_f32_e32 v15, 0x3f737871, v24
	;; [unrolled: 1-line block ×4, first 2 shown]
	v_add_f32_e32 v18, v16, v6
	v_sub_f32_e32 v65, v9, v7
	v_sub_f32_e32 v72, v22, v23
	v_add_f32_e32 v18, v18, v8
	v_add_f32_e32 v65, v65, v72
	;; [unrolled: 1-line block ×3, first 2 shown]
	v_fmac_f32_e32 v25, 0x3e9e377a, v65
	v_fmac_f32_e32 v15, 0x3e9e377a, v65
	v_add_f32_e32 v65, v18, v21
	v_add_f32_e32 v18, v8, v20
	v_fma_f32 v72, -0.5, v18, v16
	v_sub_f32_e32 v7, v7, v23
	v_mov_b32_e32 v23, v72
	v_fmac_f32_e32 v23, 0xbf737871, v7
	v_sub_f32_e32 v9, v9, v22
	v_sub_f32_e32 v18, v6, v8
	v_sub_f32_e32 v22, v21, v20
	v_fmac_f32_e32 v72, 0x3f737871, v7
	v_fmac_f32_e32 v23, 0xbf167918, v9
	v_add_f32_e32 v18, v18, v22
	v_fmac_f32_e32 v72, 0x3f167918, v9
	v_fmac_f32_e32 v23, 0x3e9e377a, v18
	;; [unrolled: 1-line block ×3, first 2 shown]
	v_add_f32_e32 v18, v6, v21
	v_fmac_f32_e32 v16, -0.5, v18
	v_mov_b32_e32 v73, v16
	v_sub_f32_e32 v6, v8, v6
	v_sub_f32_e32 v8, v20, v21
	v_fmac_f32_e32 v16, 0xbf737871, v9
	v_fmac_f32_e32 v73, 0x3f737871, v9
	v_add_f32_e32 v6, v6, v8
	v_fmac_f32_e32 v16, 0x3f167918, v7
	v_fmac_f32_e32 v73, 0xbf167918, v7
	;; [unrolled: 1-line block ×3, first 2 shown]
	v_mul_f32_e32 v8, 0x3e9e377a, v15
	v_fmac_f32_e32 v73, 0x3e9e377a, v6
	v_fma_f32 v9, v16, s5, -v8
	v_mul_f32_e32 v75, 0xbf737871, v25
	v_mul_f32_e32 v8, 0x3f4f1bbd, v14
	;; [unrolled: 1-line block ×3, first 2 shown]
	v_fmac_f32_e32 v75, 0x3e9e377a, v73
	v_fma_f32 v73, v72, s4, -v8
	s_movk_i32 s4, 0x63
	v_add_f32_e32 v20, v4, v17
	v_mul_f32_e32 v8, 0x3e9e377a, v16
	v_add_f32_e32 v21, v67, v65
	v_sub_f32_e32 v16, v4, v17
	v_sub_f32_e32 v17, v67, v65
	v_mov_b32_e32 v65, 0x1f40
	v_cmp_lt_u32_e32 vcc, s4, v40
	v_cndmask_b32_e32 v65, 0, v65, vcc
	v_add3_u32 v64, 0, v65, v64
	s_barrier
	ds_write2_b64 v64, v[38:39], v[49:50] offset1:100
	v_add_u32_e32 v38, 0x400, v64
	ds_write2_b64 v38, v[34:35], v[36:37] offset0:72 offset1:172
	v_add_u32_e32 v34, 0x800, v64
	ds_write2_b64 v34, v[30:31], v[32:33] offset0:144 offset1:244
	;; [unrolled: 2-line block ×4, first 2 shown]
	v_lshlrev_b32_e32 v10, 3, v63
	v_mul_f32_e32 v6, 0x3f167918, v23
	v_fmac_f32_e32 v7, 0x3e9e377a, v25
	v_mul_f32_e32 v74, 0xbf167918, v19
	v_fma_f32 v76, v15, s7, -v8
	v_mul_f32_e32 v8, 0x3f4f1bbd, v72
	v_add3_u32 v0, 0, v0, v10
	v_fmac_f32_e32 v6, 0x3f4f1bbd, v19
	v_add_f32_e32 v18, v70, v7
	v_fmac_f32_e32 v74, 0x3f4f1bbd, v23
	v_add_f32_e32 v22, v2, v9
	v_fma_f32 v72, v14, s6, -v8
	v_add_f32_e32 v19, v71, v75
	v_add_f32_e32 v23, v3, v76
	v_add_u32_e32 v10, 0x400, v0
	v_add_f32_e32 v24, v68, v6
	v_add_f32_e32 v14, v5, v73
	;; [unrolled: 1-line block ×4, first 2 shown]
	ds_write2_b64 v10, v[18:19], v[22:23] offset0:72 offset1:172
	v_add_u32_e32 v10, 0x800, v0
	v_sub_f32_e32 v2, v2, v9
	v_sub_f32_e32 v4, v5, v73
	;; [unrolled: 1-line block ×4, first 2 shown]
	ds_write2_b64 v0, v[20:21], v[24:25] offset1:100
	ds_write2_b64 v10, v[14:15], v[16:17] offset0:144 offset1:244
	v_add_u32_e32 v10, 0x1000, v0
	v_add_u32_e32 v0, 0x1800, v0
	ds_write2_b64 v0, v[2:3], v[4:5] offset0:32 offset1:132
	v_mul_u32_u24_e32 v0, 3, v40
	v_lshlrev_b32_e32 v0, 3, v0
	v_add_co_u32_e32 v0, vcc, s8, v0
	v_addc_co_u32_e32 v4, vcc, 0, v62, vcc
	s_movk_i32 s5, 0x1ef0
	v_add_co_u32_e32 v2, vcc, s5, v0
	v_sub_f32_e32 v6, v68, v6
	v_sub_f32_e32 v8, v70, v7
	;; [unrolled: 1-line block ×4, first 2 shown]
	s_movk_i32 s4, 0x1000
	v_addc_co_u32_e32 v3, vcc, 0, v4, vcc
	ds_write2_b64 v10, v[6:7], v[8:9] offset0:88 offset1:188
	v_add_co_u32_e32 v9, vcc, s4, v0
	v_addc_co_u32_e32 v10, vcc, 0, v4, vcc
	v_mul_i32_i24_e32 v0, 3, v44
	s_waitcnt lgkmcnt(0)
	s_barrier
	global_load_dwordx4 v[5:8], v[9:10], off offset:3824
	global_load_dwordx2 v[37:38], v[2:3], off offset:16
	v_lshlrev_b64 v[2:3], 3, v[0:1]
	s_add_u32 s6, s8, 0x7cb0
	v_add_co_u32_e32 v0, vcc, s8, v2
	v_addc_co_u32_e32 v4, vcc, v62, v3, vcc
	v_add_co_u32_e32 v2, vcc, s4, v0
	v_addc_co_u32_e32 v3, vcc, 0, v4, vcc
	global_load_dwordx4 v[9:12], v[2:3], off offset:3824
	v_add_co_u32_e32 v2, vcc, s5, v0
	v_mul_i32_i24_e32 v0, 3, v48
	v_lshlrev_b64 v[13:14], 3, v[0:1]
	v_addc_co_u32_e32 v3, vcc, 0, v4, vcc
	v_add_co_u32_e32 v0, vcc, s8, v13
	v_addc_co_u32_e32 v4, vcc, v62, v14, vcc
	v_add_co_u32_e32 v17, vcc, s5, v0
	;; [unrolled: 2-line block ×3, first 2 shown]
	v_addc_co_u32_e32 v20, vcc, 0, v4, vcc
	v_mul_i32_i24_e32 v0, 3, v47
	global_load_dwordx2 v[2:3], v[2:3], off offset:16
	s_nop 0
	global_load_dwordx4 v[13:16], v[19:20], off offset:3824
	global_load_dwordx2 v[49:50], v[17:18], off offset:16
	v_lshlrev_b64 v[17:18], 3, v[0:1]
	s_addc_u32 s7, s9, 0
	v_add_co_u32_e32 v0, vcc, s8, v17
	v_addc_co_u32_e32 v4, vcc, v62, v18, vcc
	v_add_co_u32_e32 v21, vcc, s5, v0
	v_addc_co_u32_e32 v22, vcc, 0, v4, vcc
	;; [unrolled: 2-line block ×3, first 2 shown]
	v_mul_i32_i24_e32 v0, 3, v46
	global_load_dwordx4 v[17:20], v[23:24], off offset:3824
	global_load_dwordx2 v[74:75], v[21:22], off offset:16
	v_lshlrev_b64 v[21:22], 3, v[0:1]
	v_add_co_u32_e32 v0, vcc, s8, v21
	v_addc_co_u32_e32 v4, vcc, v62, v22, vcc
	v_add_co_u32_e32 v21, vcc, s4, v0
	v_addc_co_u32_e32 v22, vcc, 0, v4, vcc
	v_add_co_u32_e32 v25, vcc, s5, v0
	global_load_dwordx4 v[21:24], v[21:22], off offset:3824
	v_addc_co_u32_e32 v26, vcc, 0, v4, vcc
	global_load_dwordx2 v[76:77], v[25:26], off offset:16
	ds_read_b64 v[78:79], v51
	ds_read2_b64 v[25:28], v56 offset0:40 offset1:240
	ds_read2_b64 v[29:32], v57 offset0:8 offset1:208
	;; [unrolled: 1-line block ×6, first 2 shown]
	v_lshl_add_u32 v4, v47, 3, 0
	v_cmp_ne_u32_e32 vcc, 0, v40
	s_waitcnt vmcnt(9) lgkmcnt(5)
	v_mul_f32_e32 v0, v6, v26
	v_mul_f32_e32 v39, v6, v25
	v_fma_f32 v0, v5, v25, -v0
	v_fmac_f32_e32 v39, v5, v26
	s_waitcnt lgkmcnt(4)
	v_mul_f32_e32 v5, v8, v32
	v_fma_f32 v55, v7, v31, -v5
	v_mul_f32_e32 v31, v8, v31
	v_fmac_f32_e32 v31, v7, v32
	s_waitcnt vmcnt(7)
	v_mul_f32_e32 v5, v10, v28
	v_fma_f32 v32, v9, v27, -v5
	v_mul_f32_e32 v27, v10, v27
	s_waitcnt lgkmcnt(3)
	v_mul_f32_e32 v5, v38, v34
	v_fmac_f32_e32 v27, v9, v28
	v_fma_f32 v28, v37, v33, -v5
	v_mul_f32_e32 v33, v38, v33
	v_fmac_f32_e32 v33, v37, v34
	ds_read_b64 v[9:10], v45
	ds_read_b64 v[25:26], v4
	s_waitcnt lgkmcnt(4)
	v_mul_f32_e32 v37, v62, v12
	v_fmac_f32_e32 v37, v63, v11
	s_waitcnt vmcnt(6)
	v_mul_f32_e32 v5, v36, v3
	v_fma_f32 v34, v35, v2, -v5
	v_mul_f32_e32 v35, v35, v3
	v_fmac_f32_e32 v35, v36, v2
	ds_read2_b64 v[5:8], v58 offset0:40 offset1:240
	v_mul_f32_e32 v2, v63, v12
	v_fma_f32 v36, v62, v11, -v2
	s_waitcnt vmcnt(5) lgkmcnt(4)
	v_mul_f32_e32 v11, v67, v14
	v_fma_f32 v38, v66, v13, -v11
	v_mul_f32_e32 v11, v65, v16
	v_mul_f32_e32 v57, v64, v16
	;; [unrolled: 1-line block ×3, first 2 shown]
	ds_read_b64 v[2:3], v53
	v_fma_f32 v56, v64, v15, -v11
	v_fmac_f32_e32 v57, v65, v15
	v_fmac_f32_e32 v58, v67, v13
	ds_read_b64 v[11:12], v54
	ds_read_b64 v[13:14], v51 offset:30400
	s_waitcnt vmcnt(4) lgkmcnt(6)
	v_mul_f32_e32 v15, v71, v50
	v_fma_f32 v59, v70, v49, -v15
	v_mul_f32_e32 v50, v70, v50
	s_waitcnt vmcnt(3)
	v_mul_f32_e32 v15, v69, v18
	v_fmac_f32_e32 v50, v71, v49
	v_fma_f32 v49, v68, v17, -v15
	s_waitcnt lgkmcnt(3)
	v_mul_f32_e32 v15, v6, v20
	v_fma_f32 v61, v5, v19, -v15
	v_mul_f32_e32 v62, v5, v20
	s_waitcnt vmcnt(2)
	v_mul_f32_e32 v5, v73, v75
	v_fma_f32 v63, v72, v74, -v5
	v_sub_f32_e32 v15, v78, v55
	v_mul_f32_e32 v60, v68, v18
	s_waitcnt vmcnt(1)
	v_mul_f32_e32 v5, v30, v22
	v_fma_f32 v65, v29, v21, -v5
	v_mul_f32_e32 v5, v8, v24
	s_waitcnt vmcnt(0) lgkmcnt(0)
	v_mul_f32_e32 v70, v13, v77
	v_fma_f32 v67, v7, v23, -v5
	v_mul_f32_e32 v5, v14, v77
	v_fmac_f32_e32 v70, v14, v76
	v_sub_f32_e32 v14, v0, v28
	v_mul_f32_e32 v68, v7, v24
	v_fma_f32 v7, v78, 2.0, -v15
	v_fma_f32 v0, v0, 2.0, -v14
	v_fmac_f32_e32 v60, v69, v17
	v_fmac_f32_e32 v62, v6, v19
	v_mul_f32_e32 v66, v29, v22
	v_fma_f32 v69, v13, v76, -v5
	v_sub_f32_e32 v5, v7, v0
	v_sub_f32_e32 v0, v9, v36
	;; [unrolled: 1-line block ×4, first 2 shown]
	v_fma_f32 v18, v10, 2.0, -v22
	v_fma_f32 v10, v27, 2.0, -v19
	v_sub_f32_e32 v19, v0, v19
	v_mul_f32_e32 v64, v72, v75
	v_fmac_f32_e32 v66, v30, v21
	v_fma_f32 v17, v9, 2.0, -v0
	v_fma_f32 v21, v0, 2.0, -v19
	v_sub_f32_e32 v0, v11, v56
	v_sub_f32_e32 v30, v12, v57
	;; [unrolled: 1-line block ×3, first 2 shown]
	v_fmac_f32_e32 v64, v73, v74
	v_fma_f32 v24, v12, 2.0, -v30
	v_fma_f32 v12, v58, 2.0, -v27
	v_sub_f32_e32 v27, v0, v27
	v_fmac_f32_e32 v68, v8, v23
	v_sub_f32_e32 v13, v39, v33
	v_sub_f32_e32 v20, v32, v34
	v_fma_f32 v23, v11, 2.0, -v0
	v_fma_f32 v29, v0, 2.0, -v27
	v_sub_f32_e32 v0, v25, v61
	v_sub_f32_e32 v36, v26, v62
	;; [unrolled: 1-line block ×4, first 2 shown]
	v_fma_f32 v9, v32, 2.0, -v20
	v_fma_f32 v32, v26, 2.0, -v36
	v_sub_f32_e32 v34, v49, v63
	v_fma_f32 v26, v60, 2.0, -v33
	v_sub_f32_e32 v33, v0, v33
	v_fma_f32 v8, v79, 2.0, -v16
	v_fma_f32 v6, v39, 2.0, -v13
	v_sub_f32_e32 v28, v38, v59
	v_fma_f32 v31, v25, 2.0, -v0
	v_fma_f32 v25, v49, 2.0, -v34
	;; [unrolled: 1-line block ×3, first 2 shown]
	v_sub_f32_e32 v0, v2, v67
	v_sub_f32_e32 v39, v3, v68
	;; [unrolled: 1-line block ×5, first 2 shown]
	v_fma_f32 v11, v38, 2.0, -v28
	v_fma_f32 v37, v2, 2.0, -v0
	;; [unrolled: 1-line block ×7, first 2 shown]
	v_sub_f32_e32 v13, v15, v13
	v_add_f32_e32 v14, v16, v14
	v_sub_f32_e32 v9, v17, v9
	v_sub_f32_e32 v10, v18, v10
	v_add_f32_e32 v20, v22, v20
	v_sub_f32_e32 v11, v23, v11
	;; [unrolled: 3-line block ×4, first 2 shown]
	v_sub_f32_e32 v3, v38, v3
	v_sub_f32_e32 v49, v0, v49
	v_add_f32_e32 v50, v39, v50
	v_fma_f32 v15, v15, 2.0, -v13
	v_fma_f32 v16, v16, 2.0, -v14
	;; [unrolled: 1-line block ×15, first 2 shown]
	s_barrier
	ds_write_b64 v51, v[7:8]
	ds_write_b64 v51, v[15:16] offset:8000
	ds_write_b64 v51, v[5:6] offset:16000
	ds_write_b64 v51, v[13:14] offset:24000
	ds_write_b64 v45, v[17:18]
	ds_write_b64 v45, v[21:22] offset:8000
	ds_write_b64 v45, v[9:10] offset:16000
	ds_write_b64 v45, v[19:20] offset:24000
	;; [unrolled: 4-line block ×5, first 2 shown]
	s_waitcnt lgkmcnt(0)
	s_barrier
	ds_read_b64 v[2:3], v51
	v_sub_u32_e32 v5, 0, v41
                                        ; implicit-def: $vgpr0
                                        ; implicit-def: $vgpr6
                                        ; implicit-def: $vgpr7
	s_and_saveexec_b64 s[4:5], vcc
	s_xor_b64 s[4:5], exec, s[4:5]
	s_cbranch_execz .LBB0_15
; %bb.14:
	v_mov_b32_e32 v41, v1
	v_lshlrev_b64 v[0:1], 3, v[40:41]
	v_mov_b32_e32 v6, s7
	v_add_co_u32_e32 v0, vcc, s6, v0
	v_addc_co_u32_e32 v1, vcc, v6, v1, vcc
	global_load_dwordx2 v[8:9], v[0:1], off
	ds_read_b64 v[0:1], v5 offset:32000
	s_waitcnt lgkmcnt(0)
	v_add_f32_e32 v10, v0, v2
	v_sub_f32_e32 v0, v2, v0
	v_add_f32_e32 v6, v1, v3
	v_sub_f32_e32 v1, v3, v1
	v_mul_f32_e32 v3, 0.5, v0
	v_mul_f32_e32 v2, 0.5, v6
	v_mul_f32_e32 v0, 0.5, v1
	s_waitcnt vmcnt(0)
	v_mul_f32_e32 v1, v9, v3
	v_fma_f32 v7, v2, v9, v0
	v_fma_f32 v9, v2, v9, -v0
	v_fma_f32 v6, 0.5, v10, v1
	v_fma_f32 v0, v10, 0.5, -v1
	v_fma_f32 v7, -v8, v3, v7
	v_fmac_f32_e32 v6, v8, v2
	v_fma_f32 v0, -v8, v2, v0
	v_fma_f32 v1, -v8, v3, v9
                                        ; implicit-def: $vgpr2_vgpr3
.LBB0_15:
	s_or_saveexec_b64 s[4:5], s[4:5]
	v_mul_i32_i24_e32 v8, 0xffffffb8, v44
	s_xor_b64 exec, exec, s[4:5]
	s_cbranch_execz .LBB0_17
; %bb.16:
	v_mov_b32_e32 v7, 0
	ds_read_b32 v1, v7 offset:16004
	s_waitcnt lgkmcnt(1)
	v_add_f32_e32 v6, v2, v3
	v_sub_f32_e32 v0, v2, v3
	s_waitcnt lgkmcnt(0)
	v_xor_b32_e32 v1, 0x80000000, v1
	ds_write_b32 v7, v1 offset:16004
	v_mov_b32_e32 v1, 0
.LBB0_17:
	s_or_b64 exec, exec, s[4:5]
	v_mov_b32_e32 v45, 0
	s_waitcnt lgkmcnt(0)
	v_lshlrev_b64 v[2:3], 3, v[44:45]
	v_mov_b32_e32 v9, s7
	v_add_co_u32_e32 v2, vcc, s6, v2
	v_addc_co_u32_e32 v3, vcc, v9, v3, vcc
	global_load_dwordx2 v[2:3], v[2:3], off
	v_mov_b32_e32 v49, v45
	v_lshlrev_b64 v[9:10], 3, v[48:49]
	v_mov_b32_e32 v11, s7
	v_add_co_u32_e32 v9, vcc, s6, v9
	v_addc_co_u32_e32 v10, vcc, v11, v10, vcc
	global_load_dwordx2 v[9:10], v[9:10], off
	v_mov_b32_e32 v48, v45
	;; [unrolled: 6-line block ×3, first 2 shown]
	v_lshlrev_b64 v[13:14], 3, v[46:47]
	v_mov_b32_e32 v17, s7
	v_add_co_u32_e32 v13, vcc, s6, v13
	ds_write2_b32 v51, v6, v7 offset1:1
	ds_write_b64 v5, v[0:1] offset:32000
	v_add_u32_e32 v8, v52, v8
	v_addc_co_u32_e32 v14, vcc, v17, v14, vcc
	ds_read_b64 v[0:1], v8
	ds_read_b64 v[6:7], v5 offset:30400
	global_load_dwordx2 v[13:14], v[13:14], off
	v_add_u32_e32 v44, 0x3e8, v40
	v_lshlrev_b64 v[15:16], 3, v[44:45]
	v_mov_b32_e32 v18, s7
	s_waitcnt lgkmcnt(0)
	v_add_f32_e32 v17, v0, v6
	v_sub_f32_e32 v0, v0, v6
	v_add_f32_e32 v19, v1, v7
	v_sub_f32_e32 v1, v1, v7
	v_mul_f32_e32 v0, 0.5, v0
	v_mul_f32_e32 v6, 0.5, v19
	v_mul_f32_e32 v1, 0.5, v1
	v_add_u32_e32 v44, 0x4b0, v40
	s_movk_i32 s4, 0x3000
	s_waitcnt vmcnt(3)
	v_mul_f32_e32 v7, v3, v0
	v_fma_f32 v19, v6, v3, v1
	v_fma_f32 v1, v6, v3, -v1
	v_fma_f32 v3, 0.5, v17, v7
	v_fma_f32 v7, v17, 0.5, -v7
	v_fma_f32 v19, -v2, v0, v19
	v_fma_f32 v0, -v2, v0, v1
	v_fmac_f32_e32 v3, v2, v6
	v_fma_f32 v1, -v2, v6, v7
	v_add_co_u32_e32 v6, vcc, s6, v15
	ds_write_b32 v8, v19 offset:4
	ds_write_b32 v5, v0 offset:30404
	ds_write_b32 v8, v3
	ds_write_b32 v5, v1 offset:30400
	v_addc_co_u32_e32 v7, vcc, v18, v16, vcc
	ds_read_b64 v[0:1], v54
	ds_read_b64 v[2:3], v5 offset:28800
	global_load_dwordx2 v[6:7], v[6:7], off
	s_waitcnt lgkmcnt(0)
	v_add_f32_e32 v8, v0, v2
	v_sub_f32_e32 v0, v0, v2
	v_add_f32_e32 v15, v1, v3
	v_sub_f32_e32 v1, v1, v3
	v_mul_f32_e32 v0, 0.5, v0
	v_mul_f32_e32 v2, 0.5, v15
	;; [unrolled: 1-line block ×3, first 2 shown]
	s_waitcnt vmcnt(3)
	v_mul_f32_e32 v3, v10, v0
	v_fma_f32 v15, v2, v10, v1
	v_fma_f32 v1, v2, v10, -v1
	v_fma_f32 v10, 0.5, v8, v3
	v_fma_f32 v15, -v9, v0, v15
	v_fma_f32 v3, v8, 0.5, -v3
	v_fmac_f32_e32 v10, v9, v2
	v_fma_f32 v1, -v9, v0, v1
	v_fma_f32 v0, -v9, v2, v3
	ds_write2_b32 v54, v10, v15 offset1:1
	ds_write_b64 v5, v[0:1] offset:28800
	ds_read_b64 v[0:1], v4
	ds_read_b64 v[2:3], v5 offset:27200
	v_lshlrev_b64 v[8:9], 3, v[44:45]
	v_mov_b32_e32 v10, s7
	v_add_co_u32_e32 v8, vcc, s6, v8
	s_waitcnt lgkmcnt(0)
	v_add_f32_e32 v15, v0, v2
	v_sub_f32_e32 v0, v0, v2
	v_add_f32_e32 v16, v1, v3
	v_sub_f32_e32 v1, v1, v3
	v_mul_f32_e32 v0, 0.5, v0
	v_mul_f32_e32 v2, 0.5, v16
	;; [unrolled: 1-line block ×3, first 2 shown]
	s_waitcnt vmcnt(2)
	v_mul_f32_e32 v3, v12, v0
	v_fma_f32 v16, v2, v12, v1
	v_fma_f32 v1, v2, v12, -v1
	v_fma_f32 v12, 0.5, v15, v3
	v_fma_f32 v16, -v11, v0, v16
	v_fma_f32 v3, v15, 0.5, -v3
	v_fmac_f32_e32 v12, v11, v2
	v_fma_f32 v1, -v11, v0, v1
	v_fma_f32 v0, -v11, v2, v3
	ds_write2_b32 v4, v12, v16 offset1:1
	ds_write_b64 v5, v[0:1] offset:27200
	ds_read_b64 v[0:1], v53
	ds_read_b64 v[2:3], v5 offset:25600
	v_addc_co_u32_e32 v9, vcc, v10, v9, vcc
	global_load_dwordx2 v[8:9], v[8:9], off
	v_add_u32_e32 v44, 0x578, v40
	s_waitcnt lgkmcnt(0)
	v_add_f32_e32 v4, v0, v2
	v_sub_f32_e32 v0, v0, v2
	v_add_f32_e32 v10, v1, v3
	v_sub_f32_e32 v1, v1, v3
	v_mul_f32_e32 v2, 0.5, v0
	v_mul_f32_e32 v10, 0.5, v10
	;; [unrolled: 1-line block ×3, first 2 shown]
	s_waitcnt vmcnt(2)
	v_mul_f32_e32 v0, v14, v2
	v_fma_f32 v3, 0.5, v4, v0
	v_fma_f32 v11, v10, v14, v1
	v_fma_f32 v0, v4, 0.5, -v0
	v_fma_f32 v1, v10, v14, -v1
	v_fmac_f32_e32 v3, v13, v10
	v_fma_f32 v11, -v13, v2, v11
	v_fma_f32 v0, -v13, v10, v0
	;; [unrolled: 1-line block ×3, first 2 shown]
	ds_write2_b32 v53, v3, v11 offset1:1
	ds_write_b64 v5, v[0:1] offset:25600
	v_lshlrev_b64 v[0:1], 3, v[44:45]
	v_mov_b32_e32 v2, s7
	v_add_co_u32_e32 v0, vcc, s6, v0
	v_addc_co_u32_e32 v1, vcc, v2, v1, vcc
	global_load_dwordx2 v[1:2], v[0:1], off
	ds_read_b64 v[3:4], v51 offset:8000
	ds_read_b64 v[10:11], v5 offset:24000
	v_add_u32_e32 v44, 0x640, v40
	s_waitcnt lgkmcnt(0)
	v_add_f32_e32 v0, v3, v10
	v_add_f32_e32 v12, v4, v11
	v_sub_f32_e32 v3, v3, v10
	v_sub_f32_e32 v4, v4, v11
	v_mul_f32_e32 v11, 0.5, v3
	v_mul_f32_e32 v13, 0.5, v4
	v_lshlrev_b64 v[3:4], 3, v[44:45]
	v_mov_b32_e32 v10, s7
	v_add_co_u32_e32 v3, vcc, s6, v3
	v_addc_co_u32_e32 v4, vcc, v10, v4, vcc
	s_waitcnt vmcnt(2)
	v_mul_f32_e32 v10, v7, v11
	v_mul_f32_e32 v12, 0.5, v12
	v_fma_f32 v14, 0.5, v0, v10
	v_fma_f32 v0, v0, 0.5, -v10
	v_fma_f32 v15, v12, v7, v13
	v_fma_f32 v10, -v6, v12, v0
	v_fma_f32 v0, v12, v7, -v13
	v_fmac_f32_e32 v14, v6, v12
	v_fma_f32 v15, -v6, v11, v15
	v_fma_f32 v11, -v6, v11, v0
	v_add_u32_e32 v0, 0x1c00, v51
	global_load_dwordx2 v[3:4], v[3:4], off
	ds_write2_b32 v0, v14, v15 offset0:208 offset1:209
	ds_write_b64 v5, v[10:11] offset:24000
	ds_read_b64 v[6:7], v51 offset:9600
	ds_read_b64 v[10:11], v5 offset:22400
	v_add_u32_e32 v44, 0x708, v40
	v_mov_b32_e32 v15, s7
	s_waitcnt lgkmcnt(0)
	v_add_f32_e32 v12, v7, v11
	v_mul_f32_e32 v14, 0.5, v12
	v_lshlrev_b64 v[12:13], 3, v[44:45]
	v_add_f32_e32 v0, v6, v10
	v_add_co_u32_e32 v12, vcc, s6, v12
	v_addc_co_u32_e32 v13, vcc, v15, v13, vcc
	global_load_dwordx2 v[12:13], v[12:13], off
	v_sub_f32_e32 v6, v6, v10
	v_mul_f32_e32 v10, 0.5, v6
	v_sub_f32_e32 v7, v7, v11
	v_mul_f32_e32 v7, 0.5, v7
	s_waitcnt vmcnt(3)
	v_mul_f32_e32 v6, v9, v10
	v_fma_f32 v11, 0.5, v0, v6
	v_fma_f32 v0, v0, 0.5, -v6
	v_fma_f32 v15, v14, v9, v7
	v_fma_f32 v6, -v8, v14, v0
	v_fma_f32 v0, v14, v9, -v7
	v_fmac_f32_e32 v11, v8, v14
	v_fma_f32 v15, -v8, v10, v15
	v_fma_f32 v7, -v8, v10, v0
	v_add_u32_e32 v0, 0x2400, v51
	ds_write2_b32 v0, v11, v15 offset0:96 offset1:97
	ds_write_b64 v5, v[6:7] offset:22400
	ds_read_b64 v[6:7], v51 offset:11200
	ds_read_b64 v[8:9], v5 offset:20800
	s_waitcnt lgkmcnt(0)
	v_add_f32_e32 v10, v6, v8
	v_sub_f32_e32 v6, v6, v8
	v_add_f32_e32 v11, v7, v9
	v_sub_f32_e32 v7, v7, v9
	v_mul_f32_e32 v8, 0.5, v6
	v_mul_f32_e32 v11, 0.5, v11
	;; [unrolled: 1-line block ×3, first 2 shown]
	s_waitcnt vmcnt(2)
	v_mul_f32_e32 v6, v2, v8
	v_fma_f32 v9, 0.5, v10, v6
	v_fma_f32 v14, v11, v2, v7
	v_fma_f32 v6, v10, 0.5, -v6
	v_fma_f32 v2, v11, v2, -v7
	v_fmac_f32_e32 v9, v1, v11
	v_fma_f32 v14, -v1, v8, v14
	v_fma_f32 v6, -v1, v11, v6
	;; [unrolled: 1-line block ×3, first 2 shown]
	v_add_u32_e32 v1, 0x2800, v51
	ds_write2_b32 v1, v9, v14 offset0:240 offset1:241
	ds_write_b64 v5, v[6:7] offset:20800
	ds_read_b64 v[1:2], v51 offset:12800
	ds_read_b64 v[6:7], v5 offset:19200
	s_waitcnt lgkmcnt(0)
	v_add_f32_e32 v8, v1, v6
	v_sub_f32_e32 v1, v1, v6
	v_add_f32_e32 v9, v2, v7
	v_sub_f32_e32 v2, v2, v7
	v_mul_f32_e32 v6, 0.5, v1
	v_mul_f32_e32 v9, 0.5, v9
	;; [unrolled: 1-line block ×3, first 2 shown]
	s_waitcnt vmcnt(1)
	v_mul_f32_e32 v1, v4, v6
	v_fma_f32 v7, 0.5, v8, v1
	v_fma_f32 v10, v9, v4, v2
	v_fma_f32 v1, v8, 0.5, -v1
	v_fma_f32 v2, v9, v4, -v2
	v_fmac_f32_e32 v7, v3, v9
	v_fma_f32 v10, -v3, v6, v10
	v_fma_f32 v1, -v3, v9, v1
	;; [unrolled: 1-line block ×3, first 2 shown]
	v_add_u32_e32 v3, 0x3000, v51
	ds_write2_b32 v3, v7, v10 offset0:128 offset1:129
	ds_write_b64 v5, v[1:2] offset:19200
	ds_read_b64 v[1:2], v51 offset:14400
	ds_read_b64 v[3:4], v5 offset:17600
	s_waitcnt lgkmcnt(0)
	v_add_f32_e32 v6, v1, v3
	v_sub_f32_e32 v1, v1, v3
	v_add_f32_e32 v7, v2, v4
	v_sub_f32_e32 v2, v2, v4
	v_mul_f32_e32 v3, 0.5, v1
	v_mul_f32_e32 v7, 0.5, v7
	;; [unrolled: 1-line block ×3, first 2 shown]
	s_waitcnt vmcnt(0)
	v_mul_f32_e32 v1, v13, v3
	v_fma_f32 v4, 0.5, v6, v1
	v_fma_f32 v8, v7, v13, v2
	v_fma_f32 v2, v7, v13, -v2
	v_fmac_f32_e32 v4, v12, v7
	v_fma_f32 v8, -v12, v3, v8
	v_fma_f32 v1, v6, 0.5, -v1
	v_fma_f32 v2, -v12, v3, v2
	v_add_u32_e32 v3, 0x3800, v51
	v_fma_f32 v1, -v12, v7, v1
	ds_write2_b32 v3, v4, v8 offset0:16 offset1:17
	ds_write_b64 v5, v[1:2] offset:17600
	s_waitcnt lgkmcnt(0)
	s_barrier
	s_and_saveexec_b64 s[6:7], s[0:1]
	s_cbranch_execz .LBB0_20
; %bb.18:
	v_mov_b32_e32 v41, v45
	ds_read2_b64 v[3:6], v51 offset1:200
	v_mov_b32_e32 v1, s3
	v_add_co_u32_e32 v2, vcc, s2, v42
	v_lshlrev_b64 v[11:12], 3, v[40:41]
	v_add_u32_e32 v7, 0xc00, v51
	v_addc_co_u32_e32 v1, vcc, v1, v43, vcc
	ds_read2_b64 v[7:10], v7 offset0:16 offset1:216
	v_add_co_u32_e32 v11, vcc, v2, v11
	v_addc_co_u32_e32 v12, vcc, v1, v12, vcc
	s_waitcnt lgkmcnt(1)
	global_store_dwordx2 v[11:12], v[3:4], off
	global_store_dwordx2 v[11:12], v[5:6], off offset:1600
	s_waitcnt lgkmcnt(0)
	global_store_dwordx2 v[11:12], v[7:8], off offset:3200
	v_add_u32_e32 v3, 0x1800, v51
	ds_read2_b64 v[3:6], v3 offset0:32 offset1:232
	s_movk_i32 s0, 0x1000
	v_add_co_u32_e32 v7, vcc, s0, v11
	v_addc_co_u32_e32 v8, vcc, 0, v12, vcc
	global_store_dwordx2 v[7:8], v[9:10], off offset:704
	s_waitcnt lgkmcnt(0)
	global_store_dwordx2 v[7:8], v[3:4], off offset:2304
	global_store_dwordx2 v[7:8], v[5:6], off offset:3904
	ds_read2_b64 v[3:6], v0 offset0:48 offset1:248
	s_movk_i32 s0, 0x2000
	v_add_co_u32_e32 v7, vcc, s0, v11
	v_addc_co_u32_e32 v8, vcc, 0, v12, vcc
	s_waitcnt lgkmcnt(0)
	global_store_dwordx2 v[7:8], v[3:4], off offset:1408
	global_store_dwordx2 v[7:8], v[5:6], off offset:3008
	v_add_u32_e32 v0, 0x3200, v51
	ds_read2_b64 v[3:6], v0 offset1:200
	v_add_u32_e32 v0, 0x3e00, v51
	ds_read2_b64 v[7:10], v0 offset0:16 offset1:216
	v_add_co_u32_e32 v13, vcc, s4, v11
	v_addc_co_u32_e32 v14, vcc, 0, v12, vcc
	s_waitcnt lgkmcnt(1)
	global_store_dwordx2 v[13:14], v[3:4], off offset:512
	global_store_dwordx2 v[13:14], v[5:6], off offset:2112
	s_waitcnt lgkmcnt(0)
	global_store_dwordx2 v[13:14], v[7:8], off offset:3712
	v_add_u32_e32 v0, 0x4a00, v51
	ds_read2_b64 v[3:6], v0 offset0:32 offset1:232
	s_movk_i32 s0, 0x4000
	v_add_co_u32_e32 v7, vcc, s0, v11
	v_addc_co_u32_e32 v8, vcc, 0, v12, vcc
	global_store_dwordx2 v[7:8], v[9:10], off offset:1216
	s_waitcnt lgkmcnt(0)
	global_store_dwordx2 v[7:8], v[3:4], off offset:2816
	v_add_u32_e32 v0, 0x5600, v51
	ds_read2_b64 v[7:10], v0 offset0:48 offset1:248
	s_movk_i32 s0, 0x5000
	v_add_co_u32_e32 v3, vcc, s0, v11
	v_addc_co_u32_e32 v4, vcc, 0, v12, vcc
	global_store_dwordx2 v[3:4], v[5:6], off offset:320
	s_waitcnt lgkmcnt(0)
	global_store_dwordx2 v[3:4], v[7:8], off offset:1920
	global_store_dwordx2 v[3:4], v[9:10], off offset:3520
	v_add_u32_e32 v0, 0x6400, v51
	ds_read2_b64 v[3:6], v0 offset1:200
	s_movk_i32 s0, 0x6000
	v_add_co_u32_e32 v7, vcc, s0, v11
	v_addc_co_u32_e32 v8, vcc, 0, v12, vcc
	s_waitcnt lgkmcnt(0)
	global_store_dwordx2 v[7:8], v[3:4], off offset:1024
	global_store_dwordx2 v[7:8], v[5:6], off offset:2624
	v_add_u32_e32 v0, 0x7000, v51
	ds_read2_b64 v[3:6], v0 offset0:16 offset1:216
	v_add_co_u32_e32 v7, vcc, 0x7000, v11
	v_addc_co_u32_e32 v8, vcc, 0, v12, vcc
	s_movk_i32 s0, 0xc7
	v_cmp_eq_u32_e32 vcc, s0, v40
	s_waitcnt lgkmcnt(0)
	global_store_dwordx2 v[7:8], v[3:4], off offset:128
	global_store_dwordx2 v[7:8], v[5:6], off offset:1728
	s_and_b64 exec, exec, vcc
	s_cbranch_execz .LBB0_20
; %bb.19:
	v_mov_b32_e32 v0, 0
	ds_read_b64 v[3:4], v0 offset:32000
	v_add_co_u32_e32 v0, vcc, 0x7000, v2
	v_addc_co_u32_e32 v1, vcc, 0, v1, vcc
	s_waitcnt lgkmcnt(0)
	global_store_dwordx2 v[0:1], v[3:4], off offset:3328
.LBB0_20:
	s_endpgm
	.section	.rodata,"a",@progbits
	.p2align	6, 0x0
	.amdhsa_kernel fft_rtc_fwd_len4000_factors_10_10_10_4_wgs_200_tpt_200_halfLds_sp_ip_CI_unitstride_sbrr_R2C_dirReg
		.amdhsa_group_segment_fixed_size 0
		.amdhsa_private_segment_fixed_size 0
		.amdhsa_kernarg_size 88
		.amdhsa_user_sgpr_count 6
		.amdhsa_user_sgpr_private_segment_buffer 1
		.amdhsa_user_sgpr_dispatch_ptr 0
		.amdhsa_user_sgpr_queue_ptr 0
		.amdhsa_user_sgpr_kernarg_segment_ptr 1
		.amdhsa_user_sgpr_dispatch_id 0
		.amdhsa_user_sgpr_flat_scratch_init 0
		.amdhsa_user_sgpr_private_segment_size 0
		.amdhsa_uses_dynamic_stack 0
		.amdhsa_system_sgpr_private_segment_wavefront_offset 0
		.amdhsa_system_sgpr_workgroup_id_x 1
		.amdhsa_system_sgpr_workgroup_id_y 0
		.amdhsa_system_sgpr_workgroup_id_z 0
		.amdhsa_system_sgpr_workgroup_info 0
		.amdhsa_system_vgpr_workitem_id 0
		.amdhsa_next_free_vgpr 89
		.amdhsa_next_free_sgpr 22
		.amdhsa_reserve_vcc 1
		.amdhsa_reserve_flat_scratch 0
		.amdhsa_float_round_mode_32 0
		.amdhsa_float_round_mode_16_64 0
		.amdhsa_float_denorm_mode_32 3
		.amdhsa_float_denorm_mode_16_64 3
		.amdhsa_dx10_clamp 1
		.amdhsa_ieee_mode 1
		.amdhsa_fp16_overflow 0
		.amdhsa_exception_fp_ieee_invalid_op 0
		.amdhsa_exception_fp_denorm_src 0
		.amdhsa_exception_fp_ieee_div_zero 0
		.amdhsa_exception_fp_ieee_overflow 0
		.amdhsa_exception_fp_ieee_underflow 0
		.amdhsa_exception_fp_ieee_inexact 0
		.amdhsa_exception_int_div_zero 0
	.end_amdhsa_kernel
	.text
.Lfunc_end0:
	.size	fft_rtc_fwd_len4000_factors_10_10_10_4_wgs_200_tpt_200_halfLds_sp_ip_CI_unitstride_sbrr_R2C_dirReg, .Lfunc_end0-fft_rtc_fwd_len4000_factors_10_10_10_4_wgs_200_tpt_200_halfLds_sp_ip_CI_unitstride_sbrr_R2C_dirReg
                                        ; -- End function
	.section	.AMDGPU.csdata,"",@progbits
; Kernel info:
; codeLenInByte = 12992
; NumSgprs: 26
; NumVgprs: 89
; ScratchSize: 0
; MemoryBound: 0
; FloatMode: 240
; IeeeMode: 1
; LDSByteSize: 0 bytes/workgroup (compile time only)
; SGPRBlocks: 3
; VGPRBlocks: 22
; NumSGPRsForWavesPerEU: 26
; NumVGPRsForWavesPerEU: 89
; Occupancy: 2
; WaveLimiterHint : 1
; COMPUTE_PGM_RSRC2:SCRATCH_EN: 0
; COMPUTE_PGM_RSRC2:USER_SGPR: 6
; COMPUTE_PGM_RSRC2:TRAP_HANDLER: 0
; COMPUTE_PGM_RSRC2:TGID_X_EN: 1
; COMPUTE_PGM_RSRC2:TGID_Y_EN: 0
; COMPUTE_PGM_RSRC2:TGID_Z_EN: 0
; COMPUTE_PGM_RSRC2:TIDIG_COMP_CNT: 0
	.type	__hip_cuid_a8b96d1c93727932,@object ; @__hip_cuid_a8b96d1c93727932
	.section	.bss,"aw",@nobits
	.globl	__hip_cuid_a8b96d1c93727932
__hip_cuid_a8b96d1c93727932:
	.byte	0                               ; 0x0
	.size	__hip_cuid_a8b96d1c93727932, 1

	.ident	"AMD clang version 19.0.0git (https://github.com/RadeonOpenCompute/llvm-project roc-6.4.0 25133 c7fe45cf4b819c5991fe208aaa96edf142730f1d)"
	.section	".note.GNU-stack","",@progbits
	.addrsig
	.addrsig_sym __hip_cuid_a8b96d1c93727932
	.amdgpu_metadata
---
amdhsa.kernels:
  - .args:
      - .actual_access:  read_only
        .address_space:  global
        .offset:         0
        .size:           8
        .value_kind:     global_buffer
      - .offset:         8
        .size:           8
        .value_kind:     by_value
      - .actual_access:  read_only
        .address_space:  global
        .offset:         16
        .size:           8
        .value_kind:     global_buffer
      - .actual_access:  read_only
        .address_space:  global
        .offset:         24
        .size:           8
        .value_kind:     global_buffer
      - .offset:         32
        .size:           8
        .value_kind:     by_value
      - .actual_access:  read_only
        .address_space:  global
        .offset:         40
        .size:           8
        .value_kind:     global_buffer
      - .actual_access:  read_only
        .address_space:  global
        .offset:         48
        .size:           8
        .value_kind:     global_buffer
      - .offset:         56
        .size:           4
        .value_kind:     by_value
      - .actual_access:  read_only
        .address_space:  global
        .offset:         64
        .size:           8
        .value_kind:     global_buffer
      - .actual_access:  read_only
        .address_space:  global
        .offset:         72
        .size:           8
        .value_kind:     global_buffer
      - .address_space:  global
        .offset:         80
        .size:           8
        .value_kind:     global_buffer
    .group_segment_fixed_size: 0
    .kernarg_segment_align: 8
    .kernarg_segment_size: 88
    .language:       OpenCL C
    .language_version:
      - 2
      - 0
    .max_flat_workgroup_size: 200
    .name:           fft_rtc_fwd_len4000_factors_10_10_10_4_wgs_200_tpt_200_halfLds_sp_ip_CI_unitstride_sbrr_R2C_dirReg
    .private_segment_fixed_size: 0
    .sgpr_count:     26
    .sgpr_spill_count: 0
    .symbol:         fft_rtc_fwd_len4000_factors_10_10_10_4_wgs_200_tpt_200_halfLds_sp_ip_CI_unitstride_sbrr_R2C_dirReg.kd
    .uniform_work_group_size: 1
    .uses_dynamic_stack: false
    .vgpr_count:     89
    .vgpr_spill_count: 0
    .wavefront_size: 64
amdhsa.target:   amdgcn-amd-amdhsa--gfx906
amdhsa.version:
  - 1
  - 2
...

	.end_amdgpu_metadata
